;; amdgpu-corpus repo=ROCm/rocFFT kind=compiled arch=gfx1201 opt=O3
	.text
	.amdgcn_target "amdgcn-amd-amdhsa--gfx1201"
	.amdhsa_code_object_version 6
	.protected	bluestein_single_back_len1485_dim1_half_op_CI_CI ; -- Begin function bluestein_single_back_len1485_dim1_half_op_CI_CI
	.globl	bluestein_single_back_len1485_dim1_half_op_CI_CI
	.p2align	8
	.type	bluestein_single_back_len1485_dim1_half_op_CI_CI,@function
bluestein_single_back_len1485_dim1_half_op_CI_CI: ; @bluestein_single_back_len1485_dim1_half_op_CI_CI
; %bb.0:
	s_load_b128 s[16:19], s[0:1], 0x28
	v_mul_u32_u24_e32 v1, 0x18e, v0
	s_mov_b32 s2, exec_lo
	v_mov_b32_e32 v17, 0
	s_delay_alu instid0(VALU_DEP_2) | instskip(NEXT) | instid1(VALU_DEP_1)
	v_lshrrev_b32_e32 v1, 16, v1
	v_add_nc_u32_e32 v16, ttmp9, v1
	s_wait_kmcnt 0x0
	s_delay_alu instid0(VALU_DEP_1)
	v_cmpx_gt_u64_e64 s[16:17], v[16:17]
	s_cbranch_execz .LBB0_18
; %bb.1:
	s_clause 0x1
	s_load_b128 s[4:7], s[0:1], 0x18
	s_load_b128 s[8:11], s[0:1], 0x0
	v_mul_lo_u16 v1, 0xa5, v1
	s_delay_alu instid0(VALU_DEP_1) | instskip(NEXT) | instid1(VALU_DEP_1)
	v_sub_nc_u16 v8, v0, v1
	v_and_b32_e32 v45, 0xffff, v8
	v_mul_lo_u16 v13, v8, 3
	s_delay_alu instid0(VALU_DEP_2)
	v_lshlrev_b32_e32 v33, 2, v45
	v_add_co_u32 v78, null, 0x14a, v45
	s_wait_kmcnt 0x0
	s_load_b128 s[12:15], s[4:5], 0x0
	s_clause 0x8
	global_load_b32 v50, v33, s[8:9]
	global_load_b32 v44, v33, s[8:9] offset:660
	global_load_b32 v48, v33, s[8:9] offset:1980
	;; [unrolled: 1-line block ×8, first 2 shown]
	v_add_co_u32 v75, null, 0xa5, v45
	v_add_nc_u32_e32 v14, 0xf00, v33
	s_wait_kmcnt 0x0
	v_mad_co_u64_u32 v[0:1], null, s14, v16, 0
	v_mad_co_u64_u32 v[2:3], null, s12, v45, 0
	s_mul_u64 s[2:3], s[12:13], 0x7bc
	s_mul_i32 s4, s13, 0xfffff31c
	s_delay_alu instid0(SALU_CYCLE_1) | instskip(NEXT) | instid1(VALU_DEP_1)
	s_sub_co_i32 s4, s4, s12
	v_mad_co_u64_u32 v[4:5], null, s15, v16, v[1:2]
	s_delay_alu instid0(VALU_DEP_1) | instskip(SKIP_1) | instid1(VALU_DEP_1)
	v_mad_co_u64_u32 v[5:6], null, s13, v45, v[3:4]
	v_mov_b32_e32 v1, v4
	v_lshlrev_b64_e32 v[0:1], 2, v[0:1]
	s_delay_alu instid0(VALU_DEP_3) | instskip(NEXT) | instid1(VALU_DEP_2)
	v_mov_b32_e32 v3, v5
	v_add_co_u32 v0, vcc_lo, s18, v0
	s_delay_alu instid0(VALU_DEP_2) | instskip(NEXT) | instid1(VALU_DEP_4)
	v_lshlrev_b64_e32 v[2:3], 2, v[2:3]
	v_add_co_ci_u32_e32 v1, vcc_lo, s19, v1, vcc_lo
	s_delay_alu instid0(VALU_DEP_2) | instskip(SKIP_1) | instid1(VALU_DEP_2)
	v_add_co_u32 v0, vcc_lo, v0, v2
	s_wait_alu 0xfffd
	v_add_co_ci_u32_e32 v1, vcc_lo, v1, v3, vcc_lo
	s_delay_alu instid0(VALU_DEP_2) | instskip(SKIP_1) | instid1(VALU_DEP_2)
	v_add_co_u32 v2, vcc_lo, v0, s2
	s_wait_alu 0xfffd
	v_add_co_ci_u32_e32 v3, vcc_lo, s3, v1, vcc_lo
	global_load_b32 v9, v[0:1], off
	v_add_co_u32 v4, vcc_lo, v2, s2
	s_wait_alu 0xfffd
	v_add_co_ci_u32_e32 v5, vcc_lo, s3, v3, vcc_lo
	s_clause 0x1
	global_load_b32 v10, v[2:3], off
	global_load_b32 v11, v[4:5], off
	v_mad_co_u64_u32 v[6:7], null, 0xfffff31c, s12, v[4:5]
	s_delay_alu instid0(VALU_DEP_1) | instskip(NEXT) | instid1(VALU_DEP_2)
	v_add_nc_u32_e32 v7, s4, v7
	v_add_co_u32 v0, vcc_lo, v6, s2
	s_wait_alu 0xfffd
	s_delay_alu instid0(VALU_DEP_2) | instskip(NEXT) | instid1(VALU_DEP_2)
	v_add_co_ci_u32_e32 v1, vcc_lo, s3, v7, vcc_lo
	v_add_co_u32 v2, vcc_lo, v0, s2
	global_load_b32 v6, v[6:7], off
	s_wait_alu 0xfffd
	v_add_co_ci_u32_e32 v3, vcc_lo, s3, v1, vcc_lo
	global_load_b32 v7, v[0:1], off
	v_mad_co_u64_u32 v[4:5], null, 0xfffff31c, s12, v[2:3]
	global_load_b32 v12, v[2:3], off
	v_add_nc_u32_e32 v5, s4, v5
	v_add_co_u32 v0, vcc_lo, v4, s2
	s_wait_alu 0xfffd
	s_delay_alu instid0(VALU_DEP_2) | instskip(NEXT) | instid1(VALU_DEP_2)
	v_add_co_ci_u32_e32 v1, vcc_lo, s3, v5, vcc_lo
	v_add_co_u32 v2, vcc_lo, v0, s2
	global_load_b32 v4, v[4:5], off
	s_wait_alu 0xfffd
	v_add_co_ci_u32_e32 v3, vcc_lo, s3, v1, vcc_lo
	global_load_b32 v0, v[0:1], off
	global_load_b32 v1, v[2:3], off
	v_add_nc_u32_e32 v5, 0x400, v33
	v_add_nc_u32_e32 v2, 0xa00, v33
	;; [unrolled: 1-line block ×3, first 2 shown]
	s_load_b128 s[4:7], s[6:7], 0x0
	s_load_b64 s[2:3], s[0:1], 0x38
	v_cmp_gt_u16_e32 vcc_lo, 0x84, v8
	s_wait_loadcnt 0xf
	v_lshrrev_b32_e32 v51, 16, v48
	v_lshrrev_b32_e32 v52, 16, v50
	s_wait_loadcnt 0xc
	v_lshrrev_b32_e32 v49, 16, v47
	v_lshrrev_b32_e32 v46, 16, v44
	v_lshrrev_b32_e32 v43, 16, v42
	v_lshrrev_b32_e32 v41, 16, v40
	s_wait_loadcnt 0xa
	v_lshrrev_b32_e32 v39, 16, v38
	v_lshrrev_b32_e32 v37, 16, v36
	s_wait_loadcnt 0x9
	v_lshrrev_b32_e32 v35, 16, v34
	s_wait_loadcnt 0x8
	v_lshrrev_b32_e32 v15, 16, v9
	v_mul_f16_e32 v17, v52, v9
	s_delay_alu instid0(VALU_DEP_2) | instskip(SKIP_2) | instid1(VALU_DEP_3)
	v_mul_f16_e32 v19, v52, v15
	s_wait_loadcnt 0x7
	v_lshrrev_b32_e32 v18, 16, v10
	v_fma_f16 v15, v50, v15, -v17
	s_wait_loadcnt 0x6
	v_lshrrev_b32_e32 v17, 16, v11
	v_mul_f16_e32 v20, v51, v10
	v_mul_f16_e32 v22, v49, v11
	v_mul_f16_e32 v21, v51, v18
	v_fmac_f16_e32 v19, v50, v9
	v_mul_f16_e32 v9, v49, v17
	v_fma_f16 v18, v48, v18, -v20
	s_delay_alu instid0(VALU_DEP_4) | instskip(SKIP_1) | instid1(VALU_DEP_4)
	v_fmac_f16_e32 v21, v48, v10
	v_fma_f16 v10, v47, v17, -v22
	v_fmac_f16_e32 v9, v47, v11
	v_pack_b32_f16 v11, v19, v15
	s_delay_alu instid0(VALU_DEP_4) | instskip(NEXT) | instid1(VALU_DEP_3)
	v_pack_b32_f16 v15, v21, v18
	v_pack_b32_f16 v9, v9, v10
	s_wait_loadcnt 0x5
	v_lshrrev_b32_e32 v17, 16, v6
	v_mul_f16_e32 v18, v46, v6
	s_wait_loadcnt 0x4
	v_lshrrev_b32_e32 v10, 16, v7
	v_mul_f16_e32 v20, v43, v7
	v_mul_f16_e32 v19, v46, v17
	v_fma_f16 v17, v44, v17, -v18
	s_delay_alu instid0(VALU_DEP_4) | instskip(NEXT) | instid1(VALU_DEP_4)
	v_mul_f16_e32 v18, v43, v10
	v_fma_f16 v10, v42, v10, -v20
	s_delay_alu instid0(VALU_DEP_4)
	v_fmac_f16_e32 v19, v44, v6
	s_wait_loadcnt 0x3
	v_lshrrev_b32_e32 v6, 16, v12
	v_mul_f16_e32 v20, v41, v12
	v_fmac_f16_e32 v18, v42, v7
	v_pack_b32_f16 v17, v19, v17
	s_delay_alu instid0(VALU_DEP_4) | instskip(NEXT) | instid1(VALU_DEP_4)
	v_mul_f16_e32 v19, v41, v6
	v_fma_f16 v6, v40, v6, -v20
	s_delay_alu instid0(VALU_DEP_2) | instskip(SKIP_3) | instid1(VALU_DEP_3)
	v_fmac_f16_e32 v19, v40, v12
	s_wait_loadcnt 0x2
	v_lshrrev_b32_e32 v7, 16, v4
	v_mul_f16_e32 v20, v39, v4
	v_pack_b32_f16 v6, v19, v6
	s_wait_loadcnt 0x1
	v_lshrrev_b32_e32 v12, 16, v0
	s_wait_loadcnt 0x0
	v_lshrrev_b32_e32 v22, 16, v1
	v_mul_f16_e32 v21, v39, v7
	v_fma_f16 v7, v38, v7, -v20
	v_mul_f16_e32 v20, v37, v0
	v_mul_f16_e32 v23, v37, v12
	;; [unrolled: 1-line block ×4, first 2 shown]
	v_fmac_f16_e32 v21, v38, v4
	v_fma_f16 v4, v36, v12, -v20
	v_fmac_f16_e32 v23, v36, v0
	v_fma_f16 v0, v34, v22, -v24
	v_fmac_f16_e32 v25, v34, v1
	v_pack_b32_f16 v7, v21, v7
	v_pack_b32_f16 v1, v18, v10
	;; [unrolled: 1-line block ×3, first 2 shown]
	v_mul_u32_u24_e32 v12, 3, v78
	v_pack_b32_f16 v0, v25, v0
	ds_store_b32 v33, v15 offset:1980
	ds_store_b32 v33, v9 offset:3960
	ds_store_2addr_b32 v33, v11, v17 offset1:165
	ds_store_b32 v33, v7 offset:1320
	ds_store_2addr_b32 v2, v1, v4 offset0:20 offset1:185
	ds_store_2addr_b32 v3, v6, v0 offset0:3 offset1:168
	global_wb scope:SCOPE_SE
	s_wait_dscnt 0x0
	s_wait_kmcnt 0x0
	s_barrier_signal -1
	s_barrier_wait -1
	global_inv scope:SCOPE_SE
	ds_load_2addr_b32 v[0:1], v5 offset0:74 offset1:239
	ds_load_2addr_b32 v[2:3], v2 offset0:20 offset1:185
	ds_load_b32 v9, v33 offset:5280
	ds_load_2addr_b32 v[4:5], v33 offset1:165
	ds_load_2addr_b32 v[6:7], v14 offset0:30 offset1:195
	v_and_b32_e32 v10, 0xffff, v13
	v_mul_u32_u24_e32 v11, 3, v75
	v_lshlrev_b32_e32 v31, 2, v12
	global_wb scope:SCOPE_SE
	s_wait_dscnt 0x0
	s_barrier_signal -1
	v_lshlrev_b32_e32 v58, 2, v10
	v_lshlrev_b32_e32 v32, 2, v11
	s_barrier_wait -1
	global_inv scope:SCOPE_SE
                                        ; implicit-def: $vgpr19
                                        ; implicit-def: $vgpr20
	v_pk_add_f16 v10, v0, v3
	v_pk_add_f16 v11, v3, v9
	;; [unrolled: 1-line block ×4, first 2 shown]
	v_pk_add_f16 v1, v1, v6 neg_lo:[0,1] neg_hi:[0,1]
	v_pk_add_f16 v12, v5, v2
	v_pk_add_f16 v15, v2, v7
	v_pk_add_f16 v2, v2, v7 neg_lo:[0,1] neg_hi:[0,1]
	v_pk_add_f16 v3, v3, v9 neg_lo:[0,1] neg_hi:[0,1]
	v_pk_fma_f16 v4, v14, 0.5, v4 op_sel_hi:[1,0,1] neg_lo:[1,0,0] neg_hi:[1,0,0]
	v_pk_mul_f16 v1, 0x3aee, v1 op_sel_hi:[0,1]
	v_pk_fma_f16 v5, v15, 0.5, v5 op_sel_hi:[1,0,1] neg_lo:[1,0,0] neg_hi:[1,0,0]
	v_pk_mul_f16 v2, 0x3aee, v2 op_sel_hi:[0,1]
	;; [unrolled: 2-line block ×3, first 2 shown]
	v_pk_add_f16 v7, v12, v7
	v_pk_add_f16 v12, v4, v1 op_sel:[0,1] op_sel_hi:[1,0]
	v_pk_add_f16 v1, v4, v1 op_sel:[0,1] op_sel_hi:[1,0] neg_lo:[0,1] neg_hi:[0,1]
	v_pk_add_f16 v21, v5, v2 op_sel:[0,1] op_sel_hi:[1,0] neg_lo:[0,1] neg_hi:[0,1]
	v_pk_add_f16 v2, v5, v2 op_sel:[0,1] op_sel_hi:[1,0]
	v_pk_add_f16 v9, v10, v9
	v_pk_add_f16 v10, v0, v3 op_sel:[0,1] op_sel_hi:[1,0]
	v_pk_add_f16 v11, v0, v3 op_sel:[0,1] op_sel_hi:[1,0] neg_lo:[0,1] neg_hi:[0,1]
	v_pk_add_f16 v6, v13, v6
	v_bfi_b32 v0, 0xffff, v12, v1
	v_bfi_b32 v1, 0xffff, v1, v12
	;; [unrolled: 1-line block ×6, first 2 shown]
	ds_store_2addr_b32 v58, v6, v0 offset1:1
	ds_store_b32 v58, v1 offset:8
	ds_store_2addr_b32 v32, v7, v3 offset1:1
	ds_store_b32 v32, v4 offset:8
	ds_store_b32 v31, v9
	ds_store_2addr_b32 v31, v12, v5 offset0:1 offset1:2
	global_wb scope:SCOPE_SE
	s_wait_dscnt 0x0
	s_barrier_signal -1
	s_barrier_wait -1
	global_inv scope:SCOPE_SE
	ds_load_b32 v24, v33
	ds_load_b32 v15, v33 offset:1188
	ds_load_b32 v14, v33 offset:2376
	;; [unrolled: 1-line block ×4, first 2 shown]
	v_lshrrev_b32_e32 v56, 16, v2
	v_lshrrev_b32_e32 v17, 16, v10
	;; [unrolled: 1-line block ×3, first 2 shown]
	s_and_saveexec_b32 s0, vcc_lo
	s_cbranch_execz .LBB0_3
; %bb.2:
	ds_load_b32 v21, v33 offset:660
	ds_load_b32 v10, v33 offset:3036
	;; [unrolled: 1-line block ×5, first 2 shown]
	s_wait_dscnt 0x4
	v_lshrrev_b32_e32 v56, 16, v21
	s_wait_dscnt 0x3
	v_lshrrev_b32_e32 v18, 16, v10
	;; [unrolled: 2-line block ×4, first 2 shown]
.LBB0_3:
	s_wait_alu 0xfffe
	s_or_b32 exec_lo, exec_lo, s0
	v_and_b32_e32 v8, 0xff, v45
	v_and_b32_e32 v1, 0xffff, v75
	s_wait_dscnt 0x3
	v_lshrrev_b32_e32 v25, 16, v15
	s_wait_dscnt 0x2
	v_lshrrev_b32_e32 v26, 16, v14
	;; [unrolled: 2-line block ×3, first 2 shown]
	v_mul_lo_u16 v0, 0xab, v8
	s_wait_dscnt 0x0
	v_lshrrev_b32_e32 v28, 16, v12
	v_lshrrev_b32_e32 v29, 16, v9
	v_lshrrev_b32_e32 v80, 16, v24
	v_lshrrev_b16 v22, 9, v0
	v_mul_u32_u24_e32 v0, 0xaaab, v1
	s_delay_alu instid0(VALU_DEP_2) | instskip(NEXT) | instid1(VALU_DEP_2)
	v_mul_lo_u16 v1, v22, 3
	v_lshrrev_b32_e32 v54, 17, v0
	v_and_b32_e32 v22, 0xffff, v22
	s_delay_alu instid0(VALU_DEP_3) | instskip(NEXT) | instid1(VALU_DEP_3)
	v_sub_nc_u16 v0, v45, v1
	v_mul_lo_u16 v1, v54, 3
	s_delay_alu instid0(VALU_DEP_3) | instskip(NEXT) | instid1(VALU_DEP_3)
	v_mul_u32_u24_e32 v22, 15, v22
	v_and_b32_e32 v23, 0xff, v0
	s_delay_alu instid0(VALU_DEP_3) | instskip(NEXT) | instid1(VALU_DEP_2)
	v_sub_nc_u16 v55, v75, v1
	v_lshlrev_b32_e32 v0, 4, v23
	s_delay_alu instid0(VALU_DEP_2) | instskip(SKIP_3) | instid1(VALU_DEP_1)
	v_lshlrev_b16 v1, 2, v55
	v_add_lshl_u32 v57, v22, v23, 2
	global_load_b128 v[4:7], v0, s[10:11]
	v_and_b32_e32 v0, 0xffff, v1
	v_lshlrev_b32_e32 v0, 2, v0
	global_load_b128 v[0:3], v0, s[10:11]
	global_wb scope:SCOPE_SE
	s_wait_loadcnt 0x0
	s_barrier_signal -1
	s_barrier_wait -1
	global_inv scope:SCOPE_SE
	v_lshrrev_b32_e32 v77, 16, v4
	v_lshrrev_b32_e32 v76, 16, v5
	;; [unrolled: 1-line block ×4, first 2 shown]
	s_delay_alu instid0(VALU_DEP_4)
	v_mul_f16_e32 v22, v25, v77
	v_mul_f16_e32 v23, v15, v77
	;; [unrolled: 1-line block ×8, first 2 shown]
	v_lshrrev_b32_e32 v73, 16, v0
	v_lshrrev_b32_e32 v71, 16, v1
	;; [unrolled: 1-line block ×4, first 2 shown]
	v_fma_f16 v15, v15, v4, -v22
	v_fmac_f16_e32 v23, v25, v4
	v_fma_f16 v14, v14, v5, -v30
	v_fmac_f16_e32 v53, v26, v5
	;; [unrolled: 2-line block ×4, first 2 shown]
	v_mul_f16_e32 v22, v29, v73
	v_mul_f16_e32 v26, v9, v73
	;; [unrolled: 1-line block ×8, first 2 shown]
	v_fma_f16 v9, v9, v0, -v22
	v_fmac_f16_e32 v26, v29, v0
	v_fma_f16 v10, v10, v1, -v25
	v_fmac_f16_e32 v27, v18, v1
	;; [unrolled: 2-line block ×4, first 2 shown]
	v_add_f16_e32 v18, v24, v15
	v_add_f16_e32 v19, v14, v13
	v_sub_f16_e32 v20, v15, v14
	v_sub_f16_e32 v22, v12, v13
	v_add_f16_e32 v59, v15, v12
	v_sub_f16_e32 v63, v14, v15
	v_sub_f16_e32 v64, v13, v12
	v_add_f16_e32 v66, v53, v60
	v_add_f16_e32 v81, v23, v62
	v_sub_f16_e32 v28, v23, v62
	v_sub_f16_e32 v29, v53, v60
	v_add_f16_e32 v65, v80, v23
	v_sub_f16_e32 v15, v15, v12
	v_sub_f16_e32 v67, v14, v13
	;; [unrolled: 1-line block ×6, first 2 shown]
	v_add_f16_e32 v14, v18, v14
	v_fma_f16 v25, -0.5, v19, v24
	v_add_f16_e32 v18, v20, v22
	v_fmac_f16_e32 v24, -0.5, v59
	v_add_f16_e32 v59, v63, v64
	v_fma_f16 v86, -0.5, v66, v80
	v_fmac_f16_e32 v80, -0.5, v81
	v_add_f16_e32 v22, v21, v9
	v_add_f16_e32 v64, v10, v11
	;; [unrolled: 1-line block ×8, first 2 shown]
	v_sub_f16_e32 v65, v26, v61
	v_sub_f16_e32 v66, v27, v30
	;; [unrolled: 1-line block ×5, first 2 shown]
	v_add_f16_e32 v84, v56, v26
	v_sub_f16_e32 v9, v9, v17
	v_sub_f16_e32 v87, v10, v11
	;; [unrolled: 1-line block ×4, first 2 shown]
	v_fmamk_f16 v20, v28, 0x3b9c, v25
	v_fmamk_f16 v23, v29, 0xbb9c, v24
	v_fmac_f16_e32 v24, 0x3b9c, v29
	v_fmamk_f16 v89, v15, 0xbb9c, v86
	v_add_f16_e32 v10, v22, v10
	v_fma_f16 v22, -0.5, v64, v21
	v_fmac_f16_e32 v21, -0.5, v81
	v_fma_f16 v88, -0.5, v85, v56
	v_fmac_f16_e32 v56, -0.5, v93
	v_fmamk_f16 v90, v67, 0x3b9c, v80
	v_fmac_f16_e32 v80, 0xbb9c, v67
	v_fmac_f16_e32 v25, 0xbb9c, v28
	;; [unrolled: 1-line block ×3, first 2 shown]
	v_sub_f16_e32 v83, v11, v17
	v_sub_f16_e32 v26, v27, v26
	;; [unrolled: 1-line block ×3, first 2 shown]
	v_add_f16_e32 v13, v14, v13
	v_add_f16_e32 v14, v19, v60
	;; [unrolled: 1-line block ×5, first 2 shown]
	v_fmac_f16_e32 v20, 0x38b4, v29
	v_fmac_f16_e32 v23, 0x38b4, v28
	v_fmac_f16_e32 v24, 0xb8b4, v28
	v_fmac_f16_e32 v89, 0xb8b4, v67
	v_fmamk_f16 v27, v65, 0x3b9c, v22
	v_fmac_f16_e32 v22, 0xbb9c, v65
	v_fmamk_f16 v28, v66, 0xbb9c, v21
	v_fmac_f16_e32 v21, 0x3b9c, v66
	;; [unrolled: 2-line block ×4, first 2 shown]
	v_fmac_f16_e32 v90, 0xb8b4, v15
	v_fmac_f16_e32 v80, 0x38b4, v15
	;; [unrolled: 1-line block ×4, first 2 shown]
	v_add_f16_e32 v64, v82, v83
	v_add_f16_e32 v82, v26, v94
	;; [unrolled: 1-line block ×6, first 2 shown]
	v_fmac_f16_e32 v20, 0x34f2, v18
	v_fmac_f16_e32 v89, 0x34f2, v53
	;; [unrolled: 1-line block ×16, first 2 shown]
	v_add_f16_e32 v26, v10, v17
	v_add_f16_e32 v97, v11, v61
	v_pack_b32_f16 v9, v19, v79
	v_fmac_f16_e32 v27, 0x34f2, v60
	v_fmac_f16_e32 v22, 0x34f2, v60
	;; [unrolled: 1-line block ×7, first 2 shown]
	v_pack_b32_f16 v10, v20, v89
	v_fmac_f16_e32 v56, 0x34f2, v82
	v_pack_b32_f16 v11, v23, v90
	v_pack_b32_f16 v12, v24, v80
	;; [unrolled: 1-line block ×3, first 2 shown]
	ds_store_2addr_b32 v57, v9, v10 offset1:3
	ds_store_2addr_b32 v57, v11, v12 offset0:6 offset1:9
	ds_store_b32 v57, v13 offset:48
	s_and_saveexec_b32 s0, vcc_lo
	s_cbranch_execz .LBB0_5
; %bb.4:
	v_mad_u16 v9, v54, 15, v55
	v_perm_b32 v10, v97, v26, 0x5040100
	v_perm_b32 v11, v91, v27, 0x5040100
	;; [unrolled: 1-line block ×4, first 2 shown]
	v_and_b32_e32 v9, 0xffff, v9
	v_perm_b32 v14, v88, v22, 0x5040100
	s_delay_alu instid0(VALU_DEP_2)
	v_lshlrev_b32_e32 v9, 2, v9
	ds_store_2addr_b32 v9, v10, v11 offset1:3
	ds_store_2addr_b32 v9, v12, v13 offset0:6 offset1:9
	ds_store_b32 v9, v14 offset:48
.LBB0_5:
	s_wait_alu 0xfffe
	s_or_b32 exec_lo, exec_lo, s0
	v_add_co_u32 v29, s0, s8, v33
	s_wait_alu 0xf1ff
	v_add_co_ci_u32_e64 v30, null, s9, 0, s0
	v_cmp_gt_u16_e64 s0, 0x87, v45
	global_wb scope:SCOPE_SE
	s_wait_dscnt 0x0
	s_barrier_signal -1
	s_barrier_wait -1
	global_inv scope:SCOPE_SE
                                        ; implicit-def: $vgpr105
                                        ; implicit-def: $vgpr106
	s_and_saveexec_b32 s1, s0
	s_cbranch_execz .LBB0_7
; %bb.6:
	v_add_nc_u32_e32 v9, 0x400, v33
	v_add_nc_u32_e32 v10, 0x800, v33
	;; [unrolled: 1-line block ×3, first 2 shown]
	ds_load_2addr_b32 v[19:20], v33 offset1:135
	ds_load_2addr_b32 v[23:24], v9 offset0:14 offset1:149
	v_add_nc_u32_e32 v9, 0x1000, v33
	ds_load_2addr_b32 v[25:26], v10 offset0:28 offset1:163
	ds_load_2addr_b32 v[27:28], v11 offset0:42 offset1:177
	ds_load_2addr_b32 v[21:22], v9 offset0:56 offset1:191
	ds_load_b32 v105, v33 offset:5400
	s_wait_dscnt 0x5
	v_lshrrev_b32_e32 v79, 16, v19
	v_lshrrev_b32_e32 v89, 16, v20
	s_wait_dscnt 0x4
	v_lshrrev_b32_e32 v90, 16, v23
	v_lshrrev_b32_e32 v80, 16, v24
	;; [unrolled: 3-line block ×5, first 2 shown]
	s_wait_dscnt 0x0
	v_lshrrev_b32_e32 v106, 16, v105
.LBB0_7:
	s_wait_alu 0xfffe
	s_or_b32 exec_lo, exec_lo, s1
	v_mul_lo_u16 v8, 0x89, v8
	s_delay_alu instid0(VALU_DEP_1) | instskip(NEXT) | instid1(VALU_DEP_1)
	v_lshrrev_b16 v135, 11, v8
	v_mul_lo_u16 v8, v135, 15
	s_delay_alu instid0(VALU_DEP_1) | instskip(NEXT) | instid1(VALU_DEP_1)
	v_sub_nc_u16 v8, v45, v8
	v_and_b32_e32 v53, 0xff, v8
	s_delay_alu instid0(VALU_DEP_1)
	v_mad_co_u64_u32 v[17:18], null, v53, 40, s[10:11]
	s_clause 0x2
	global_load_b128 v[12:15], v[17:18], off offset:48
	global_load_b128 v[8:11], v[17:18], off offset:64
	global_load_b64 v[17:18], v[17:18], off offset:80
	global_wb scope:SCOPE_SE
	s_wait_loadcnt 0x0
	s_barrier_signal -1
	s_barrier_wait -1
	global_inv scope:SCOPE_SE
	v_lshrrev_b32_e32 v67, 16, v12
	v_lshrrev_b32_e32 v61, 16, v15
	;; [unrolled: 1-line block ×6, first 2 shown]
	v_mul_f16_e32 v98, v89, v67
	v_mul_f16_e32 v95, v20, v67
	;; [unrolled: 1-line block ×5, first 2 shown]
	v_lshrrev_b32_e32 v63, 16, v14
	v_lshrrev_b32_e32 v59, 16, v8
	;; [unrolled: 1-line block ×3, first 2 shown]
	v_mul_f16_e32 v99, v90, v65
	v_mul_f16_e32 v94, v23, v65
	;; [unrolled: 1-line block ×6, first 2 shown]
	v_fma_f16 v104, v20, v12, -v98
	v_fmac_f16_e32 v95, v89, v12
	v_fmac_f16_e32 v92, v86, v15
	v_fma_f16 v86, v105, v18, -v112
	v_fmac_f16_e32 v81, v106, v18
	v_lshrrev_b32_e32 v60, 16, v9
	v_mul_f16_e32 v100, v80, v63
	v_mul_f16_e32 v93, v24, v63
	;; [unrolled: 1-line block ×6, first 2 shown]
	v_fma_f16 v103, v23, v13, -v99
	v_fmac_f16_e32 v94, v90, v13
	v_fmac_f16_e32 v84, v96, v10
	v_fma_f16 v96, v22, v17, -v111
	v_fmac_f16_e32 v82, v88, v17
	v_sub_f16_e32 v122, v104, v86
	v_sub_f16_e32 v116, v95, v81
	v_mul_f16_e32 v107, v97, v59
	v_mul_f16_e32 v108, v91, v60
	v_fma_f16 v102, v24, v14, -v100
	v_fmac_f16_e32 v93, v80, v14
	v_fmac_f16_e32 v87, v97, v8
	v_fma_f16 v98, v28, v10, -v109
	v_fma_f16 v97, v21, v11, -v110
	v_fmac_f16_e32 v83, v56, v11
	v_add_f16_e32 v20, v104, v86
	v_add_f16_e32 v22, v95, v81
	v_sub_f16_e32 v127, v103, v96
	v_sub_f16_e32 v118, v94, v82
	v_mul_f16_e32 v109, 0xb853, v116
	v_mul_f16_e32 v114, 0xb853, v122
	;; [unrolled: 1-line block ×3, first 2 shown]
	v_mul_f16_e64 v132, 0xbb47, v122
	v_mul_f16_e32 v85, v27, v60
	v_fma_f16 v101, v25, v15, -v101
	v_fma_f16 v99, v27, v9, -v108
	v_add_f16_e32 v21, v103, v96
	v_add_f16_e32 v23, v94, v82
	v_sub_f16_e64 v129, v102, v97
	v_sub_f16_e32 v119, v93, v83
	v_mul_f16_e32 v108, 0xbb47, v118
	v_mul_f16_e32 v113, 0xbb47, v127
	;; [unrolled: 1-line block ×3, first 2 shown]
	v_mul_f16_e64 v130, 0xba0c, v127
	v_fmamk_f16 v56, v20, 0x3abb, v109
	v_fma_f16 v88, v22, 0x3abb, -v114
	v_fmamk_f16 v89, v20, 0x36a6, v125
	v_fma_f16 v90, v22, 0x36a6, -v132
	v_fma_f16 v100, v26, v8, -v107
	v_fmac_f16_e32 v85, v91, v9
	v_add_f16_e32 v24, v102, v97
	v_add_f16_e32 v25, v93, v83
	v_sub_f16_e64 v131, v101, v98
	v_sub_f16_e32 v117, v92, v84
	v_mul_f16_e32 v107, 0xbbeb, v119
	v_mul_f16_e64 v112, 0xbbeb, v129
	v_mul_f16_e32 v123, 0x3482, v119
	v_mul_f16_e64 v128, 0x3482, v129
	v_fmamk_f16 v91, v21, 0x36a6, v108
	v_fma_f16 v136, v23, 0x36a6, -v113
	v_fma_f16 v137, 0xb93d, v21, v124
	v_fma_f16 v138, v23, 0xb93d, -v130
	v_add_f16_e32 v56, v19, v56
	v_add_f16_e32 v88, v79, v88
	v_add_f16_e32 v89, v19, v89
	v_add_f16_e32 v90, v79, v90
	v_add_f16_e32 v26, v101, v98
	v_add_f16_e32 v27, v92, v84
	v_sub_f16_e64 v133, v100, v99
	v_sub_f16_e32 v120, v87, v85
	v_mul_f16_e32 v106, 0xba0c, v117
	v_mul_f16_e64 v111, 0xba0c, v131
	v_mul_f16_e32 v121, 0x3beb, v117
	v_mul_f16_e64 v126, 0x3beb, v131
	v_fma_f16 v139, 0xb08e, v24, v107
	v_fma_f16 v140, v25, 0xb08e, -v112
	v_fma_f16 v141, 0xbbad, v24, v123
	v_fma_f16 v142, v25, 0xbbad, -v128
	v_add_f16_e32 v56, v91, v56
	v_add_f16_e64 v88, v136, v88
	v_add_f16_e64 v89, v137, v89
	;; [unrolled: 1-line block ×3, first 2 shown]
	v_add_f16_e32 v28, v100, v99
	v_add_f16_e32 v80, v87, v85
	v_mul_f16_e32 v105, 0xb482, v120
	v_mul_f16_e64 v110, 0xb482, v133
	v_mul_f16_e32 v115, 0x3853, v120
	v_mul_f16_e64 v134, 0x3853, v133
	v_fma_f16 v143, 0xb93d, v26, v106
	v_fma_f16 v144, v27, 0xb93d, -v111
	v_fma_f16 v145, 0xb08e, v26, v121
	v_fma_f16 v146, v27, 0xb08e, -v126
	v_add_f16_e64 v56, v139, v56
	v_add_f16_e64 v88, v140, v88
	;; [unrolled: 1-line block ×4, first 2 shown]
	v_fma_f16 v147, 0xbbad, v28, v105
	v_fma_f16 v148, v80, 0xbbad, -v110
	v_fmamk_f16 v91, v28, 0x3abb, v115
	v_fma_f16 v136, v80, 0x3abb, -v134
	v_add_f16_e64 v56, v143, v56
	v_add_f16_e64 v137, v144, v88
	;; [unrolled: 1-line block ×4, first 2 shown]
	s_delay_alu instid0(VALU_DEP_4) | instskip(NEXT) | instid1(VALU_DEP_4)
	v_add_f16_e64 v88, v147, v56
	v_add_f16_e64 v89, v148, v137
	s_delay_alu instid0(VALU_DEP_4) | instskip(NEXT) | instid1(VALU_DEP_4)
	v_add_f16_e64 v90, v91, v138
	v_add_f16_e64 v91, v136, v139
	v_and_b32_e32 v56, 0xffff, v135
	s_and_saveexec_b32 s1, s0
	s_cbranch_execz .LBB0_9
; %bb.8:
	v_mul_f16_e64 v145, 0xb482, v122
	v_mul_f16_e64 v151, 0x3853, v127
	v_mul_f16_e64 v156, 0xba0c, v129
	v_mul_f16_e64 v159, 0xb482, v116
	v_add_f16_e32 v95, v79, v95
	v_fma_f16 v150, 0xbbad, v22, v145
	v_fma_f16 v155, 0x3abb, v23, v151
	v_mul_f16_e64 v160, 0x3b47, v131
	v_fma_f16 v162, v20, 0xbbad, -v159
	v_mul_f16_e64 v163, 0x3853, v118
	v_add_f16_e64 v150, v79, v150
	v_add_f16_e32 v94, v95, v94
	v_mul_f16_e64 v164, 0xbbeb, v133
	v_add_f16_e64 v162, v19, v162
	v_fma_f16 v165, v21, 0x3abb, -v163
	v_add_f16_e64 v150, v155, v150
	v_fma_f16 v155, 0xb93d, v25, v156
	v_mul_f16_e64 v166, 0xba0c, v119
	v_add_f16_e32 v93, v94, v93
	v_mul_f16_e64 v167, 0xba0c, v122
	v_add_f16_e64 v162, v165, v162
	v_add_f16_e64 v150, v155, v150
	v_fma_f16 v155, 0x36a6, v27, v160
	v_fma_f16 v165, v24, 0xb93d, -v166
	v_mul_f16_e64 v168, 0x3b47, v117
	v_add_f16_e32 v104, v19, v104
	v_add_f16_e32 v92, v93, v92
	v_add_f16_e64 v150, v155, v150
	v_fma_f16 v155, 0xb08e, v80, v164
	v_mul_f16_e64 v137, 0x36a6, v20
	v_mul_f16_e64 v169, 0x3beb, v127
	v_add_f16_e64 v162, v165, v162
	v_fma_f16 v165, v26, 0x36a6, -v168
	v_add_f16_e64 v150, v155, v150
	v_fma_f16 v155, 0xb93d, v22, v167
	v_mul_f16_e64 v170, 0xbbeb, v120
	v_mul_f16_e64 v135, 0x3abb, v20
	v_add_f16_e32 v103, v104, v103
	v_add_f16_e32 v87, v92, v87
	v_mul_f16_e64 v141, 0xb93d, v21
	v_add_f16_e64 v155, v79, v155
	v_fma_f16 v171, 0xb08e, v23, v169
	v_mul_f16_e64 v172, 0xb853, v129
	v_add_f16_e64 v162, v165, v162
	v_fma_f16 v165, v28, 0xb08e, -v170
	v_mul_f16_e64 v173, 0xba0c, v116
	v_sub_f16_e64 v125, v137, v125
	v_mul_f16_e64 v139, 0x36a6, v21
	v_add_f16_e32 v102, v103, v102
	v_sub_f16_e64 v103, v135, v109
	v_add_f16_e32 v85, v87, v85
	v_mul_f16_e64 v146, 0xbbad, v24
	v_add_f16_e64 v155, v171, v155
	v_fma_f16 v171, 0x3abb, v25, v172
	v_mul_f16_e64 v174, 0xb482, v131
	v_add_f16_e64 v162, v165, v162
	v_fma_f16 v165, v20, 0xb93d, -v173
	v_mul_f16_e64 v175, 0x3beb, v118
	v_add_f16_e32 v125, v19, v125
	v_sub_f16_e64 v124, v141, v124
	v_mul_f16_e64 v143, 0xb08e, v24
	v_add_f16_e32 v101, v102, v101
	v_add_f16_e32 v102, v19, v103
	v_sub_f16_e64 v103, v139, v108
	v_add_f16_e32 v84, v85, v84
	v_mul_f16_e64 v136, 0x3abb, v22
	v_mul_f16_e64 v152, 0xb08e, v26
	v_add_f16_e64 v155, v171, v155
	v_fma_f16 v171, 0xbbad, v27, v174
	v_mul_f16_e64 v176, 0x3b47, v133
	v_add_f16_e64 v165, v19, v165
	v_fma_f16 v177, v21, 0xb08e, -v175
	v_mul_f16_e64 v178, 0xb853, v119
	v_add_f16_e32 v124, v124, v125
	v_sub_f16_e64 v123, v146, v123
	v_mul_f16_e64 v148, 0xb93d, v26
	v_add_f16_e32 v100, v101, v100
	v_add_f16_e32 v101, v103, v102
	v_sub_f16_e64 v92, v143, v107
	v_add_f16_e32 v83, v84, v83
	v_mul_f16_e64 v140, 0x36a6, v23
	v_mul_f16_e64 v158, 0x3abb, v28
	v_add_f16_e64 v155, v171, v155
	v_fma_f16 v171, 0x36a6, v80, v176
	v_mul_f16_e32 v122, 0xbbeb, v122
	v_add_f16_e64 v165, v177, v165
	v_fma_f16 v177, v24, 0x3abb, -v178
	v_mul_f16_e64 v179, 0xb482, v117
	v_add_f16_e32 v123, v123, v124
	v_sub_f16_e64 v121, v152, v121
	v_add_f16_e64 v114, v114, v136
	v_mul_f16_e64 v154, 0xbbad, v28
	v_add_f16_e32 v87, v92, v101
	v_sub_f16_e64 v92, v148, v106
	v_add_f16_e32 v82, v83, v82
	v_mul_f16_e64 v144, 0xb08e, v25
	v_add_f16_e64 v155, v171, v155
	v_fma_f16 v171, 0xb08e, v22, v122
	v_mul_f16_e32 v127, 0x3482, v127
	v_add_f16_e64 v165, v177, v165
	v_fma_f16 v177, v26, 0xbbad, -v179
	v_mul_f16_e64 v180, 0x3b47, v120
	v_add_f16_e32 v121, v121, v123
	v_sub_f16_e64 v104, v158, v115
	v_add_f16_e32 v114, v79, v114
	v_add_f16_e64 v113, v113, v140
	v_fma_f16 v85, v22, 0xbbad, -v145
	v_add_f16_e32 v87, v92, v87
	v_sub_f16_e64 v92, v154, v105
	v_add_f16_e32 v81, v82, v81
	v_fma_f16 v82, v22, 0xb93d, -v167
	v_mul_f16_e64 v138, 0x36a6, v22
	v_mul_f16_e64 v149, 0xb93d, v27
	v_add_f16_e64 v171, v79, v171
	v_fma_f16 v181, 0xbbad, v23, v127
	v_mul_f16_e64 v129, 0x3b47, v129
	v_add_f16_e64 v165, v177, v165
	v_fma_f16 v177, v28, 0x36a6, -v180
	v_mul_f16_e32 v116, 0xbbeb, v116
	v_add_f16_e32 v95, v104, v121
	v_add_f16_e32 v104, v113, v114
	v_add_f16_e64 v94, v112, v144
	v_add_f16_e32 v84, v79, v85
	v_fma_f16 v85, v23, 0x3abb, -v151
	v_add_f16_e32 v87, v92, v87
	v_fmac_f16_e64 v159, 0xbbad, v20
	v_add_f16_e32 v82, v79, v82
	v_fma_f16 v92, v23, 0xb08e, -v169
	v_mul_f16_e64 v142, 0xb93d, v23
	v_mul_f16_e64 v157, 0xbbad, v80
	v_add_f16_e64 v171, v181, v171
	v_fma_f16 v181, 0x36a6, v25, v129
	v_mul_f16_e64 v131, 0xb853, v131
	v_add_f16_e64 v165, v177, v165
	v_fma_f16 v177, v20, 0xb08e, -v116
	v_mul_f16_e32 v118, 0x3482, v118
	v_add_f16_e64 v132, v132, v138
	v_add_f16_e32 v93, v94, v104
	v_add_f16_e64 v94, v111, v149
	v_add_f16_e32 v99, v100, v99
	v_add_f16_e32 v83, v85, v84
	v_fma_f16 v84, v25, 0xb93d, -v156
	v_add_f16_e64 v85, v19, v159
	v_fmac_f16_e64 v163, 0x3abb, v21
	v_add_f16_e32 v82, v92, v82
	v_fma_f16 v92, v25, 0x3abb, -v172
	v_fmac_f16_e64 v173, 0xb93d, v20
	v_fma_f16 v22, v22, 0xb08e, -v122
	v_fmac_f16_e32 v116, 0xb08e, v20
	v_mul_f16_e64 v147, 0xbbad, v25
	v_add_f16_e64 v171, v181, v171
	v_fma_f16 v181, 0x3abb, v27, v131
	v_add_f16_e64 v177, v19, v177
	v_fma_f16 v182, v21, 0xbbad, -v118
	v_mul_f16_e32 v119, 0x3b47, v119
	v_add_f16_e64 v132, v79, v132
	v_add_f16_e64 v130, v130, v142
	v_add_f16_e32 v93, v94, v93
	v_add_f16_e64 v94, v110, v157
	v_add_f16_e32 v98, v99, v98
	v_add_f16_e32 v83, v84, v83
	v_fma_f16 v84, v27, 0x36a6, -v160
	v_add_f16_e64 v85, v163, v85
	v_fmac_f16_e64 v166, 0xb93d, v24
	v_add_f16_e32 v82, v92, v82
	v_add_f16_e64 v92, v19, v173
	v_fmac_f16_e64 v175, 0xb08e, v21
	v_add_f16_e32 v22, v79, v22
	v_fma_f16 v23, v23, 0xbbad, -v127
	v_add_f16_e32 v19, v19, v116
	v_fmac_f16_e32 v118, 0xbbad, v21
	v_mul_f16_e64 v153, 0xb08e, v27
	v_add_f16_e64 v138, v181, v171
	v_add_f16_e64 v177, v182, v177
	v_fma_f16 v181, v24, 0x36a6, -v119
	v_mul_f16_e32 v117, 0xb853, v117
	v_add_f16_e64 v130, v130, v132
	v_add_f16_e64 v128, v128, v147
	v_add_f16_e32 v93, v94, v93
	v_add_f16_e32 v94, v98, v97
	;; [unrolled: 1-line block ×3, first 2 shown]
	v_fma_f16 v84, v80, 0xb08e, -v164
	v_add_f16_e64 v85, v166, v85
	v_fmac_f16_e64 v168, 0x36a6, v26
	v_add_f16_e64 v20, v175, v92
	v_fmac_f16_e64 v178, 0x3abb, v24
	v_add_f16_e32 v21, v23, v22
	v_fma_f16 v22, v25, 0x36a6, -v129
	v_add_f16_e32 v19, v118, v19
	v_fmac_f16_e32 v119, 0x36a6, v24
	v_mul_f16_e64 v161, 0x3abb, v80
	v_mul_f16_e64 v133, 0xba0c, v133
	v_add_f16_e64 v137, v181, v177
	v_fma_f16 v132, v26, 0x3abb, -v117
	v_mul_f16_e32 v120, 0xba0c, v120
	v_add_f16_e64 v128, v128, v130
	v_add_f16_e64 v126, v126, v153
	v_add_f16_e32 v94, v94, v96
	v_add_f16_e32 v83, v84, v83
	v_add_f16_e64 v84, v168, v85
	v_fma_f16 v85, v27, 0xbbad, -v174
	v_add_f16_e64 v20, v178, v20
	v_fmac_f16_e64 v179, 0xbbad, v26
	v_add_f16_e32 v21, v22, v21
	v_fma_f16 v22, v27, 0x3abb, -v131
	v_add_f16_e32 v19, v119, v19
	v_fmac_f16_e32 v117, 0x3abb, v26
	v_fma_f16 v171, 0xb93d, v80, v133
	v_add_f16_e64 v125, v132, v137
	v_fma_f16 v130, v28, 0xb93d, -v120
	v_add_f16_e64 v126, v126, v128
	v_add_f16_e64 v128, v134, v161
	v_add_f16_e32 v86, v94, v86
	v_mul_u32_u24_e32 v24, 0xa5, v56
	v_fmac_f16_e64 v170, 0xb08e, v28
	v_add_f16_e32 v82, v85, v82
	v_fma_f16 v23, v80, 0x36a6, -v176
	v_add_f16_e64 v20, v179, v20
	v_fmac_f16_e64 v180, 0x36a6, v28
	v_add_f16_e32 v21, v22, v21
	v_fma_f16 v22, v80, 0xb93d, -v133
	v_add_f16_e32 v19, v117, v19
	v_fmac_f16_e32 v120, 0xb93d, v28
	v_add_f16_e64 v138, v171, v138
	v_add_f16_e64 v124, v130, v125
	;; [unrolled: 1-line block ×3, first 2 shown]
	v_add_lshl_u32 v24, v24, v53, 2
	v_pack_b32_f16 v25, v86, v81
	v_pack_b32_f16 v26, v87, v93
	v_add_f16_e64 v84, v170, v84
	v_add_f16_e32 v23, v23, v82
	v_add_f16_e64 v20, v180, v20
	v_add_f16_e32 v21, v22, v21
	v_add_f16_e32 v19, v120, v19
	ds_store_2addr_b32 v24, v25, v26 offset1:15
	v_pack_b32_f16 v22, v95, v125
	v_pack_b32_f16 v25, v124, v138
	v_pack_b32_f16 v26, v165, v155
	v_pack_b32_f16 v27, v162, v150
	v_pack_b32_f16 v28, v84, v83
	v_pack_b32_f16 v20, v20, v23
	v_pack_b32_f16 v19, v19, v21
	v_perm_b32 v21, v91, v90, 0x5040100
	v_perm_b32 v23, v89, v88, 0x5040100
	ds_store_2addr_b32 v24, v22, v25 offset0:30 offset1:45
	ds_store_2addr_b32 v24, v26, v27 offset0:60 offset1:75
	;; [unrolled: 1-line block ×4, first 2 shown]
	ds_store_b32 v24, v23 offset:600
.LBB0_9:
	s_wait_alu 0xfffe
	s_or_b32 exec_lo, exec_lo, s1
	v_and_b32_e32 v19, 0xffff, v78
	v_lshlrev_b32_e32 v82, 3, v45
	global_wb scope:SCOPE_SE
	s_wait_dscnt 0x0
	s_barrier_signal -1
	s_barrier_wait -1
	v_mul_u32_u24_e32 v19, 0x8d31, v19
	global_inv scope:SCOPE_SE
	global_load_b64 v[21:22], v82, s[10:11] offset:648
	v_add_nc_u32_e32 v93, 0x400, v33
	v_add_nc_u32_e32 v92, 0xf00, v33
	v_lshrrev_b32_e32 v19, 16, v19
	v_add_nc_u32_e32 v94, 0xa00, v33
	ds_load_2addr_b32 v[23:24], v33 offset1:165
	v_lshlrev_b32_e32 v84, 3, v75
	v_lshlrev_b32_e32 v86, 3, v78
	v_sub_nc_u16 v20, v78, v19
	s_add_nc_u64 s[8:9], s[8:9], 0x1734
	s_delay_alu instid0(VALU_DEP_1) | instskip(NEXT) | instid1(VALU_DEP_1)
	v_lshrrev_b16 v20, 1, v20
	v_add_nc_u16 v19, v20, v19
	s_delay_alu instid0(VALU_DEP_1) | instskip(SKIP_3) | instid1(VALU_DEP_3)
	v_lshrrev_b16 v19, 7, v19
	s_wait_dscnt 0x0
	v_lshrrev_b32_e32 v95, 16, v23
	v_lshrrev_b32_e32 v96, 16, v24
	v_mul_lo_u16 v19, 0xa5, v19
	s_delay_alu instid0(VALU_DEP_1) | instskip(NEXT) | instid1(VALU_DEP_1)
	v_sub_nc_u16 v79, v78, v19
	v_lshlrev_b16 v19, 3, v79
	v_and_b32_e32 v75, 0xffff, v79
	s_delay_alu instid0(VALU_DEP_2) | instskip(NEXT) | instid1(VALU_DEP_2)
	v_and_b32_e32 v19, 0xffff, v19
	v_lshlrev_b32_e32 v75, 2, v75
	s_delay_alu instid0(VALU_DEP_2) | instskip(SKIP_2) | instid1(VALU_DEP_3)
	v_add_co_u32 v19, s1, s10, v19
	s_wait_alu 0xf1ff
	v_add_co_ci_u32_e64 v20, null, s11, 0, s1
	v_add_nc_u32_e32 v102, 0xf00, v75
	global_load_b64 v[19:20], v[19:20], off offset:648
	ds_load_b32 v83, v33 offset:5280
	ds_load_2addr_b32 v[25:26], v93 offset0:74 offset1:239
	ds_load_2addr_b32 v[27:28], v92 offset0:30 offset1:195
	;; [unrolled: 1-line block ×3, first 2 shown]
	global_wb scope:SCOPE_SE
	s_wait_loadcnt_dscnt 0x0
	s_barrier_signal -1
	s_barrier_wait -1
	global_inv scope:SCOPE_SE
	v_lshrrev_b32_e32 v97, 16, v83
	v_lshrrev_b32_e32 v85, 16, v26
	;; [unrolled: 1-line block ×9, first 2 shown]
	s_delay_alu instid0(VALU_DEP_2) | instskip(SKIP_1) | instid1(VALU_DEP_3)
	v_mul_f16_e32 v103, v85, v78
	v_mul_f16_e32 v104, v26, v78
	;; [unrolled: 1-line block ×8, first 2 shown]
	v_fma_f16 v26, v26, v21, -v103
	v_fmac_f16_e32 v104, v85, v21
	v_fma_f16 v27, v27, v22, -v105
	v_fmac_f16_e32 v106, v87, v22
	;; [unrolled: 2-line block ×4, first 2 shown]
	v_add_f16_e32 v85, v23, v26
	v_add_f16_e32 v87, v26, v27
	;; [unrolled: 1-line block ×5, first 2 shown]
	v_sub_f16_e32 v107, v108, v110
	v_add_f16_e32 v109, v96, v108
	v_add_f16_e32 v108, v108, v110
	v_sub_f16_e32 v98, v104, v106
	v_sub_f16_e32 v26, v26, v27
	v_add_f16_e32 v104, v24, v80
	v_sub_f16_e32 v80, v80, v28
	v_add_f16_e32 v27, v85, v27
	v_fma_f16 v23, -0.5, v87, v23
	v_add_f16_e32 v99, v99, v106
	v_fmac_f16_e32 v95, -0.5, v103
	v_fmac_f16_e32 v24, -0.5, v105
	;; [unrolled: 1-line block ×3, first 2 shown]
	v_add_f16_e32 v28, v104, v28
	v_fmamk_f16 v104, v98, 0x3aee, v23
	v_fmac_f16_e32 v23, 0xbaee, v98
	v_fmamk_f16 v98, v26, 0xbaee, v95
	v_fmac_f16_e32 v95, 0x3aee, v26
	v_fmamk_f16 v26, v107, 0x3aee, v24
	v_fmac_f16_e32 v24, 0xbaee, v107
	v_fmamk_f16 v105, v80, 0xbaee, v96
	v_fmac_f16_e32 v96, 0x3aee, v80
	v_pack_b32_f16 v27, v27, v99
	v_pack_b32_f16 v23, v23, v95
	v_add_f16_e32 v103, v109, v110
	v_pack_b32_f16 v26, v26, v105
	v_pack_b32_f16 v24, v24, v96
	s_delay_alu instid0(VALU_DEP_3) | instskip(SKIP_2) | instid1(VALU_DEP_2)
	v_pack_b32_f16 v28, v28, v103
	v_lshrrev_b32_e32 v87, 16, v19
	v_lshrrev_b32_e32 v85, 16, v20
	v_mul_f16_e32 v80, v101, v87
	s_delay_alu instid0(VALU_DEP_2) | instskip(SKIP_2) | instid1(VALU_DEP_4)
	v_mul_f16_e32 v99, v97, v85
	v_mul_f16_e32 v106, v81, v87
	;; [unrolled: 1-line block ×3, first 2 shown]
	v_fma_f16 v80, v81, v19, -v80
	s_delay_alu instid0(VALU_DEP_4) | instskip(NEXT) | instid1(VALU_DEP_4)
	v_fma_f16 v81, v83, v20, -v99
	v_fmac_f16_e32 v106, v101, v19
	s_delay_alu instid0(VALU_DEP_4)
	v_fmac_f16_e32 v107, v97, v20
	v_pack_b32_f16 v83, v104, v98
	v_add_f16_e32 v97, v25, v80
	v_add_f16_e32 v95, v80, v81
	;; [unrolled: 1-line block ×4, first 2 shown]
	v_sub_f16_e32 v99, v106, v107
	v_sub_f16_e32 v80, v80, v81
	v_fmac_f16_e32 v25, -0.5, v95
	v_add_f16_e32 v81, v97, v81
	v_fmac_f16_e32 v100, -0.5, v98
	v_add_f16_e32 v95, v101, v107
	v_add_nc_u32_e32 v104, 0x1200, v33
	v_fmamk_f16 v97, v99, 0x3aee, v25
	v_fmac_f16_e32 v25, 0xbaee, v99
	v_fmamk_f16 v98, v80, 0xbaee, v100
	v_fmac_f16_e32 v100, 0x3aee, v80
	v_pack_b32_f16 v80, v81, v95
	s_delay_alu instid0(VALU_DEP_3) | instskip(NEXT) | instid1(VALU_DEP_3)
	v_pack_b32_f16 v81, v97, v98
	v_pack_b32_f16 v25, v25, v100
	ds_store_2addr_b32 v33, v27, v83 offset1:165
	ds_store_2addr_b32 v93, v23, v28 offset0:74 offset1:239
	ds_store_2addr_b32 v94, v26, v24 offset0:20 offset1:185
	;; [unrolled: 1-line block ×3, first 2 shown]
	ds_store_b32 v75, v25 offset:5280
	global_wb scope:SCOPE_SE
	s_wait_dscnt 0x0
	s_barrier_signal -1
	s_barrier_wait -1
	global_inv scope:SCOPE_SE
	s_clause 0x2
	global_load_b64 v[27:28], v82, s[10:11] offset:1968
	global_load_b64 v[25:26], v84, s[10:11] offset:1968
	;; [unrolled: 1-line block ×3, first 2 shown]
	ds_load_2addr_b32 v[95:96], v33 offset1:165
	ds_load_2addr_b32 v[97:98], v93 offset0:74 offset1:239
	ds_load_2addr_b32 v[99:100], v92 offset0:30 offset1:195
	;; [unrolled: 1-line block ×3, first 2 shown]
	ds_load_b32 v103, v33 offset:5280
	s_wait_dscnt 0x4
	v_lshrrev_b32_e32 v105, 16, v95
	s_wait_dscnt 0x3
	v_lshrrev_b32_e32 v106, 16, v98
	;; [unrolled: 2-line block ×4, first 2 shown]
	v_lshrrev_b32_e32 v110, 16, v100
	v_lshrrev_b32_e32 v112, 16, v102
	s_wait_dscnt 0x0
	v_lshrrev_b32_e32 v113, 16, v103
	v_lshrrev_b32_e32 v111, 16, v97
	;; [unrolled: 1-line block ×3, first 2 shown]
	s_wait_loadcnt 0x2
	v_lshrrev_b32_e32 v86, 16, v27
	v_lshrrev_b32_e32 v84, 16, v28
	s_wait_loadcnt 0x1
	v_lshrrev_b32_e32 v83, 16, v25
	v_lshrrev_b32_e32 v82, 16, v26
	;; [unrolled: 3-line block ×3, first 2 shown]
	v_mul_f16_e32 v114, v106, v86
	v_mul_f16_e32 v115, v98, v86
	;; [unrolled: 1-line block ×12, first 2 shown]
	v_fma_f16 v98, v98, v27, -v114
	v_fmac_f16_e32 v115, v106, v27
	v_fma_f16 v99, v99, v28, -v116
	v_fmac_f16_e32 v117, v107, v28
	;; [unrolled: 2-line block ×6, first 2 shown]
	v_add_f16_e32 v107, v98, v99
	v_add_f16_e32 v112, v115, v117
	;; [unrolled: 1-line block ×5, first 2 shown]
	v_sub_f16_e32 v122, v123, v125
	v_add_f16_e32 v124, v111, v123
	v_add_f16_e32 v123, v123, v125
	;; [unrolled: 1-line block ×3, first 2 shown]
	v_sub_f16_e32 v109, v115, v117
	v_add_f16_e32 v110, v105, v115
	v_sub_f16_e32 v98, v98, v99
	v_sub_f16_e32 v115, v119, v121
	v_add_f16_e32 v116, v108, v119
	v_add_f16_e32 v119, v97, v102
	v_fma_f16 v95, -0.5, v107, v95
	v_fmac_f16_e32 v105, -0.5, v112
	v_add_f16_e32 v113, v96, v101
	v_sub_f16_e32 v101, v101, v100
	v_sub_f16_e32 v102, v102, v103
	v_fmac_f16_e32 v96, -0.5, v114
	v_fmac_f16_e32 v108, -0.5, v118
	v_fmac_f16_e32 v97, -0.5, v120
	v_fmac_f16_e32 v111, -0.5, v123
	v_add_f16_e32 v99, v106, v99
	v_add_f16_e32 v106, v110, v117
	;; [unrolled: 1-line block ×4, first 2 shown]
	v_fmamk_f16 v112, v109, 0x3aee, v95
	v_fmac_f16_e32 v95, 0xbaee, v109
	v_fmamk_f16 v109, v98, 0xbaee, v105
	v_fmac_f16_e32 v105, 0x3aee, v98
	v_add_f16_e32 v100, v113, v100
	v_add_f16_e32 v107, v116, v121
	v_fmamk_f16 v98, v115, 0x3aee, v96
	v_fmamk_f16 v113, v101, 0xbaee, v108
	v_fmac_f16_e32 v108, 0x3aee, v101
	v_fmamk_f16 v101, v122, 0x3aee, v97
	v_fmamk_f16 v114, v102, 0xbaee, v111
	v_fmac_f16_e32 v96, 0xbaee, v115
	v_fmac_f16_e32 v97, 0xbaee, v122
	;; [unrolled: 1-line block ×3, first 2 shown]
	v_pack_b32_f16 v102, v103, v110
	v_pack_b32_f16 v103, v112, v109
	;; [unrolled: 1-line block ×9, first 2 shown]
	ds_store_b32 v33, v103 offset:1980
	ds_store_b32 v33, v95 offset:3960
	ds_store_2addr_b32 v33, v99, v100 offset1:165
	ds_store_b32 v33, v102 offset:1320
	ds_store_2addr_b32 v94, v98, v101 offset0:20 offset1:185
	ds_store_2addr_b32 v104, v96, v97 offset0:3 offset1:168
	global_wb scope:SCOPE_SE
	s_wait_dscnt 0x0
	s_barrier_signal -1
	s_barrier_wait -1
	global_inv scope:SCOPE_SE
	global_load_b32 v95, v[29:30], off offset:5940
	v_lshlrev_b32_e32 v29, 2, v45
	s_clause 0x7
	global_load_b32 v101, v29, s[8:9] offset:1980
	global_load_b32 v102, v29, s[8:9] offset:660
	;; [unrolled: 1-line block ×8, first 2 shown]
	ds_load_2addr_b32 v[29:30], v33 offset1:165
	ds_load_b32 v110, v33 offset:5280
	v_add_nc_u32_e32 v111, 0x700, v33
	v_add_nc_u32_e32 v112, 0x200, v33
	;; [unrolled: 1-line block ×3, first 2 shown]
	s_wait_dscnt 0x1
	v_lshrrev_b32_e32 v96, 16, v29
	v_lshrrev_b32_e32 v114, 16, v30
	s_wait_dscnt 0x0
	v_lshrrev_b32_e32 v115, 16, v110
	s_wait_loadcnt 0x7
	v_lshrrev_b32_e32 v116, 16, v101
	v_lshrrev_b32_e32 v97, 16, v95
	s_wait_loadcnt 0x5
	v_lshrrev_b32_e32 v117, 16, v103
	s_wait_loadcnt 0x4
	;; [unrolled: 2-line block ×3, first 2 shown]
	v_lshrrev_b32_e32 v121, 16, v106
	v_mul_f16_e32 v98, v96, v97
	v_mul_f16_e32 v97, v29, v97
	;; [unrolled: 1-line block ×4, first 2 shown]
	s_delay_alu instid0(VALU_DEP_4) | instskip(NEXT) | instid1(VALU_DEP_4)
	v_fma_f16 v29, v29, v95, -v98
	v_fmac_f16_e32 v97, v96, v95
	s_delay_alu instid0(VALU_DEP_3) | instskip(NEXT) | instid1(VALU_DEP_2)
	v_fmac_f16_e32 v117, v115, v103
	v_pack_b32_f16 v29, v29, v97
	ds_store_b32 v33, v29
	ds_load_2addr_b32 v[95:96], v93 offset0:74 offset1:239
	ds_load_2addr_b32 v[97:98], v92 offset0:30 offset1:195
	;; [unrolled: 1-line block ×3, first 2 shown]
	v_lshrrev_b32_e32 v29, 16, v102
	s_delay_alu instid0(VALU_DEP_1) | instskip(SKIP_1) | instid1(VALU_DEP_2)
	v_mul_f16_e32 v119, v114, v29
	v_mul_f16_e32 v29, v30, v29
	v_fma_f16 v30, v30, v102, -v119
	s_delay_alu instid0(VALU_DEP_2)
	v_fmac_f16_e32 v29, v114, v102
	v_fma_f16 v102, v110, v103, -v120
	s_wait_loadcnt 0x0
	v_lshrrev_b32_e32 v110, 16, v109
	v_lshrrev_b32_e32 v114, 16, v108
	;; [unrolled: 1-line block ×3, first 2 shown]
	v_pack_b32_f16 v29, v30, v29
	v_pack_b32_f16 v30, v102, v117
	s_wait_dscnt 0x2
	v_lshrrev_b32_e32 v102, 16, v96
	v_mul_f16_e32 v115, v96, v116
	s_wait_dscnt 0x1
	v_lshrrev_b32_e32 v117, 16, v97
	v_mul_f16_e32 v119, v97, v118
	s_wait_dscnt 0x0
	v_lshrrev_b32_e32 v120, 16, v99
	v_lshrrev_b32_e32 v125, 16, v95
	;; [unrolled: 1-line block ×4, first 2 shown]
	v_mul_f16_e32 v122, v99, v121
	v_mul_f16_e32 v116, v102, v116
	v_fmac_f16_e32 v115, v102, v101
	v_mul_f16_e32 v102, v117, v118
	v_fmac_f16_e32 v119, v117, v105
	v_mul_f16_e32 v117, v120, v121
	v_mul_f16_e32 v126, v95, v110
	;; [unrolled: 1-line block ×3, first 2 shown]
	v_mul_f16_e64 v128, v100, v114
	v_mul_f16_e32 v114, v127, v114
	v_mul_f16_e32 v124, v98, v103
	;; [unrolled: 1-line block ×3, first 2 shown]
	v_fmac_f16_e32 v122, v120, v106
	v_fma_f16 v96, v96, v101, -v116
	v_fma_f16 v99, v99, v106, -v117
	v_fmac_f16_e32 v126, v125, v109
	v_fma_f16 v95, v95, v109, -v110
	v_fmac_f16_e64 v128, v127, v108
	v_fma_f16 v97, v97, v105, -v102
	v_fma_f16 v100, v100, v108, -v114
	v_fmac_f16_e32 v124, v123, v107
	v_fma_f16 v98, v98, v107, -v103
	v_pack_b32_f16 v96, v96, v115
	v_pack_b32_f16 v99, v99, v122
	;; [unrolled: 1-line block ×6, first 2 shown]
	ds_store_2addr_b32 v111, v96, v99 offset0:47 offset1:212
	ds_store_2addr_b32 v112, v29, v95 offset0:37 offset1:202
	;; [unrolled: 1-line block ×4, first 2 shown]
	global_wb scope:SCOPE_SE
	s_wait_dscnt 0x0
	s_barrier_signal -1
	s_barrier_wait -1
	global_inv scope:SCOPE_SE
	ds_load_2addr_b32 v[29:30], v93 offset0:74 offset1:239
	ds_load_2addr_b32 v[93:94], v94 offset0:20 offset1:185
	ds_load_b32 v99, v33 offset:5280
	ds_load_2addr_b32 v[95:96], v33 offset1:165
	ds_load_2addr_b32 v[97:98], v92 offset0:30 offset1:195
	global_wb scope:SCOPE_SE
	s_wait_dscnt 0x0
	s_barrier_signal -1
	s_barrier_wait -1
	global_inv scope:SCOPE_SE
	v_pk_add_f16 v92, v29, v94
	v_pk_add_f16 v100, v94, v99
	;; [unrolled: 1-line block ×4, first 2 shown]
	v_pk_add_f16 v30, v30, v97 neg_lo:[0,1] neg_hi:[0,1]
	v_pk_add_f16 v104, v93, v98
	v_pk_add_f16 v105, v93, v98 neg_lo:[0,1] neg_hi:[0,1]
	v_pk_add_f16 v101, v96, v93
	v_pk_add_f16 v93, v92, v99
	v_pk_fma_f16 v92, v100, 0.5, v29 op_sel_hi:[1,0,1] neg_lo:[1,0,0] neg_hi:[1,0,0]
	v_pk_fma_f16 v29, v103, 0.5, v95 op_sel_hi:[1,0,1] neg_lo:[1,0,0] neg_hi:[1,0,0]
	v_pk_mul_f16 v30, 0x3aee, v30 op_sel_hi:[0,1]
	v_pk_fma_f16 v95, v104, 0.5, v96 op_sel_hi:[1,0,1] neg_lo:[1,0,0] neg_hi:[1,0,0]
	v_pk_mul_f16 v96, 0x3aee, v105 op_sel_hi:[0,1]
	v_pk_add_f16 v94, v94, v99 neg_lo:[0,1] neg_hi:[0,1]
	v_pk_add_f16 v98, v101, v98
	v_pk_add_f16 v99, v29, v30 op_sel:[0,1] op_sel_hi:[1,0] neg_lo:[0,1] neg_hi:[0,1]
	v_pk_add_f16 v100, v29, v30 op_sel:[0,1] op_sel_hi:[1,0]
	v_pk_add_f16 v29, v95, v96 op_sel:[0,1] op_sel_hi:[1,0]
	v_pk_add_f16 v101, v95, v96 op_sel:[0,1] op_sel_hi:[1,0] neg_lo:[0,1] neg_hi:[0,1]
	v_pk_add_f16 v97, v102, v97
	v_pk_fma_f16 v30, 0x3aee, v94, v92 op_sel:[0,0,1] op_sel_hi:[0,1,0] neg_lo:[0,1,0] neg_hi:[0,1,0]
	v_pk_fma_f16 v94, 0x3aee, v94, v92 op_sel:[0,0,1] op_sel_hi:[0,1,0]
	v_bfi_b32 v92, 0xffff, v99, v100
	v_bfi_b32 v95, 0xffff, v100, v99
	;; [unrolled: 1-line block ×4, first 2 shown]
	v_alignbit_b32 v100, v30, v94, 16
	v_alignbit_b32 v102, v94, v30, 16
	ds_store_2addr_b32 v58, v97, v92 offset1:1
	ds_store_b32 v58, v95 offset:8
	ds_store_2addr_b32 v32, v98, v96 offset1:1
	ds_store_b32 v32, v99 offset:8
	ds_store_b32 v31, v93
	ds_store_2addr_b32 v31, v102, v100 offset0:1 offset1:2
	global_wb scope:SCOPE_SE
	s_wait_dscnt 0x0
	s_barrier_signal -1
	s_barrier_wait -1
	global_inv scope:SCOPE_SE
	ds_load_b32 v32, v33
	ds_load_b32 v97, v33 offset:1188
	ds_load_b32 v98, v33 offset:2376
	;; [unrolled: 1-line block ×4, first 2 shown]
	v_lshrrev_b32_e32 v31, 16, v30
	v_lshrrev_b32_e32 v58, 16, v101
	s_and_saveexec_b32 s1, vcc_lo
	s_cbranch_execz .LBB0_11
; %bb.10:
	ds_load_b32 v29, v33 offset:660
	ds_load_b32 v92, v33 offset:4224
	;; [unrolled: 1-line block ×5, first 2 shown]
	s_wait_dscnt 0x4
	v_lshrrev_b32_e32 v58, 16, v29
	s_wait_dscnt 0x3
	v_lshrrev_b32_e32 v30, 16, v92
	;; [unrolled: 2-line block ×3, first 2 shown]
	s_wait_dscnt 0x1
	v_alignbit_b32 v94, v92, v31, 16
.LBB0_11:
	s_wait_alu 0xfffe
	s_or_b32 exec_lo, exec_lo, s1
	s_wait_dscnt 0x3
	v_lshrrev_b32_e32 v99, 16, v97
	s_wait_dscnt 0x2
	v_lshrrev_b32_e32 v100, 16, v98
	;; [unrolled: 2-line block ×3, first 2 shown]
	v_mul_f16_e32 v102, v77, v97
	s_wait_dscnt 0x0
	v_lshrrev_b32_e32 v104, 16, v95
	v_mul_f16_e32 v77, v77, v99
	v_mul_f16_e32 v103, v76, v100
	;; [unrolled: 1-line block ×3, first 2 shown]
	v_fma_f16 v99, v4, v99, -v102
	v_lshrrev_b32_e32 v92, 16, v32
	v_fmac_f16_e32 v77, v4, v97
	v_fmac_f16_e32 v103, v5, v98
	v_mul_f16_e32 v97, v74, v101
	v_fma_f16 v5, v5, v100, -v76
	v_mul_f16_e32 v4, v74, v96
	v_mul_f16_e32 v74, v72, v104
	v_lshrrev_b32_e32 v76, 16, v93
	v_fmac_f16_e32 v97, v6, v96
	v_mul_f16_e32 v72, v72, v95
	v_fma_f16 v96, v6, v101, -v4
	v_fmac_f16_e32 v74, v7, v95
	v_mul_f16_e32 v95, v73, v76
	v_mul_f16_e32 v4, v73, v93
	;; [unrolled: 1-line block ×4, first 2 shown]
	v_fma_f16 v72, v7, v104, -v72
	v_fmac_f16_e32 v95, v0, v93
	v_fma_f16 v76, v0, v76, -v4
	v_lshrrev_b32_e32 v0, 16, v94
	v_fmac_f16_e32 v73, v1, v31
	v_fma_f16 v93, v1, v94, -v6
	v_add_f16_e32 v1, v103, v97
	v_mul_f16_e32 v94, v70, v30
	v_mul_f16_e32 v6, v70, v0
	v_add_f16_e32 v7, v32, v77
	v_sub_f16_e32 v70, v99, v72
	v_fma_f16 v4, -0.5, v1, v32
	v_mul_f16_e32 v71, v69, v91
	v_fma_f16 v98, v2, v30, -v6
	v_add_f16_e32 v30, v77, v74
	v_fmac_f16_e32 v94, v2, v0
	v_add_f16_e32 v0, v7, v103
	v_fmamk_f16 v1, v70, 0xbb9c, v4
	v_sub_f16_e32 v2, v5, v96
	v_sub_f16_e32 v6, v77, v103
	;; [unrolled: 1-line block ×3, first 2 shown]
	v_mul_f16_e32 v31, v69, v90
	v_fmac_f16_e32 v32, -0.5, v30
	v_fmac_f16_e32 v4, 0x3b9c, v70
	v_add_f16_e32 v30, v92, v99
	v_fmac_f16_e32 v71, v3, v90
	v_add_f16_e32 v0, v0, v97
	;; [unrolled: 2-line block ×3, first 2 shown]
	v_fma_f16 v90, v3, v91, -v31
	v_fmamk_f16 v31, v2, 0x3b9c, v32
	v_sub_f16_e32 v3, v103, v77
	v_sub_f16_e32 v7, v97, v74
	v_fmac_f16_e32 v4, 0x38b4, v2
	v_add_f16_e32 v69, v5, v96
	v_fmac_f16_e32 v32, 0xbb9c, v2
	v_add_f16_e32 v2, v30, v5
	v_add_f16_e32 v0, v0, v74
	v_fmac_f16_e32 v1, 0x34f2, v6
	v_fmac_f16_e32 v31, 0xb8b4, v70
	v_add_f16_e32 v3, v3, v7
	v_fma_f16 v7, -0.5, v69, v92
	v_sub_f16_e32 v74, v77, v74
	v_fmac_f16_e32 v4, 0x34f2, v6
	v_fmac_f16_e32 v32, 0x38b4, v70
	v_add_f16_e32 v2, v2, v96
	v_add_f16_e32 v6, v99, v72
	v_fmac_f16_e32 v31, 0x34f2, v3
	v_fmamk_f16 v69, v74, 0x3b9c, v7
	v_sub_f16_e32 v30, v103, v97
	v_sub_f16_e32 v70, v99, v5
	;; [unrolled: 1-line block ×3, first 2 shown]
	v_fmac_f16_e32 v32, 0x34f2, v3
	v_fmac_f16_e32 v92, -0.5, v6
	v_add_f16_e32 v6, v2, v72
	v_fmac_f16_e32 v7, 0xbb9c, v74
	v_sub_f16_e32 v3, v5, v99
	v_sub_f16_e32 v5, v96, v72
	v_add_f16_e32 v72, v73, v94
	v_fmac_f16_e32 v69, 0x38b4, v30
	v_add_f16_e32 v2, v70, v77
	v_fmamk_f16 v70, v30, 0xbb9c, v92
	v_fmac_f16_e32 v7, 0xb8b4, v30
	v_fmac_f16_e32 v92, 0x3b9c, v30
	v_fma_f16 v30, -0.5, v72, v29
	v_sub_f16_e32 v72, v76, v90
	v_fmac_f16_e32 v69, 0x34f2, v2
	v_fmac_f16_e32 v70, 0x38b4, v74
	;; [unrolled: 1-line block ×4, first 2 shown]
	v_fmamk_f16 v2, v72, 0xbb9c, v30
	v_sub_f16_e32 v74, v93, v98
	v_sub_f16_e32 v77, v95, v73
	;; [unrolled: 1-line block ×3, first 2 shown]
	v_fmac_f16_e32 v30, 0x3b9c, v72
	v_add_f16_e32 v96, v95, v71
	v_fmac_f16_e32 v2, 0xb8b4, v74
	v_add_f16_e32 v3, v3, v5
	v_add_f16_e32 v77, v77, v91
	v_fmac_f16_e32 v30, 0x38b4, v74
	v_add_f16_e32 v5, v95, v29
	v_fmac_f16_e32 v29, -0.5, v96
	v_fmac_f16_e32 v70, 0x34f2, v3
	v_fmac_f16_e32 v2, 0x34f2, v77
	;; [unrolled: 1-line block ×3, first 2 shown]
	v_add_f16_e32 v77, v93, v98
	v_add_f16_e32 v5, v73, v5
	v_fmac_f16_e32 v92, 0x34f2, v3
	v_fmamk_f16 v3, v74, 0x3b9c, v29
	v_sub_f16_e32 v91, v73, v95
	v_sub_f16_e32 v96, v94, v71
	v_fmac_f16_e32 v29, 0xbb9c, v74
	v_fma_f16 v74, -0.5, v77, v58
	v_sub_f16_e32 v77, v95, v71
	v_add_f16_e32 v95, v76, v90
	v_add_f16_e32 v5, v94, v5
	;; [unrolled: 1-line block ×3, first 2 shown]
	v_fmac_f16_e32 v3, 0xb8b4, v72
	v_add_f16_e32 v91, v91, v96
	v_fmac_f16_e32 v29, 0x38b4, v72
	v_sub_f16_e32 v94, v73, v94
	v_fmac_f16_e32 v58, -0.5, v95
	v_add_f16_e32 v5, v71, v5
	v_add_f16_e32 v72, v93, v97
	v_fmamk_f16 v71, v77, 0x3b9c, v74
	v_fmac_f16_e32 v3, 0x34f2, v91
	v_fmac_f16_e32 v29, 0x34f2, v91
	v_sub_f16_e32 v91, v76, v93
	v_sub_f16_e32 v95, v90, v98
	v_fmac_f16_e32 v74, 0xbb9c, v77
	v_fmamk_f16 v73, v94, 0xbb9c, v58
	v_sub_f16_e32 v76, v93, v76
	v_sub_f16_e32 v93, v98, v90
	v_fmac_f16_e32 v58, 0x3b9c, v94
	v_add_f16_e32 v72, v98, v72
	v_fmac_f16_e32 v71, 0x38b4, v94
	v_add_f16_e32 v91, v91, v95
	v_fmac_f16_e32 v74, 0xb8b4, v94
	v_fmac_f16_e32 v73, 0x38b4, v77
	v_add_f16_e32 v76, v76, v93
	v_fmac_f16_e32 v58, 0xb8b4, v77
	v_add_f16_e32 v72, v90, v72
	v_fmac_f16_e32 v71, 0x34f2, v91
	v_fmac_f16_e32 v74, 0x34f2, v91
	v_fmac_f16_e32 v73, 0x34f2, v76
	v_fmac_f16_e32 v58, 0x34f2, v76
	v_pack_b32_f16 v76, v0, v6
	v_pack_b32_f16 v77, v1, v69
	;; [unrolled: 1-line block ×5, first 2 shown]
	global_wb scope:SCOPE_SE
	s_barrier_signal -1
	s_barrier_wait -1
	global_inv scope:SCOPE_SE
	ds_store_2addr_b32 v57, v76, v77 offset1:3
	ds_store_2addr_b32 v57, v90, v91 offset0:6 offset1:9
	ds_store_b32 v57, v93 offset:48
	s_and_saveexec_b32 s1, vcc_lo
	s_cbranch_execz .LBB0_13
; %bb.12:
	v_mad_u16 v54, v54, 15, v55
	v_perm_b32 v55, v72, v5, 0x5040100
	v_perm_b32 v57, v71, v2, 0x5040100
	;; [unrolled: 1-line block ×4, first 2 shown]
	v_and_b32_e32 v54, 0xffff, v54
	v_perm_b32 v90, v74, v30, 0x5040100
	s_delay_alu instid0(VALU_DEP_2)
	v_lshlrev_b32_e32 v54, 2, v54
	ds_store_2addr_b32 v54, v55, v57 offset1:3
	ds_store_2addr_b32 v54, v76, v77 offset0:6 offset1:9
	ds_store_b32 v54, v90 offset:48
.LBB0_13:
	s_wait_alu 0xfffe
	s_or_b32 exec_lo, exec_lo, s1
	global_wb scope:SCOPE_SE
	s_wait_dscnt 0x0
	s_barrier_signal -1
	s_barrier_wait -1
	global_inv scope:SCOPE_SE
	s_and_saveexec_b32 s1, s0
	s_cbranch_execz .LBB0_15
; %bb.14:
	v_add_nc_u32_e32 v2, 0x400, v33
	v_add_nc_u32_e32 v3, 0x800, v33
	;; [unrolled: 1-line block ×4, first 2 shown]
	ds_load_2addr_b32 v[0:1], v33 offset1:135
	ds_load_2addr_b32 v[31:32], v2 offset0:14 offset1:149
	ds_load_2addr_b32 v[4:5], v3 offset0:28 offset1:163
	;; [unrolled: 1-line block ×4, first 2 shown]
	ds_load_b32 v88, v33 offset:5400
	s_wait_dscnt 0x3
	v_lshrrev_b32_e32 v7, 16, v4
	v_lshrrev_b32_e32 v6, 16, v0
	v_lshrrev_b32_e32 v69, 16, v1
	v_lshrrev_b32_e32 v70, 16, v31
	v_lshrrev_b32_e32 v92, 16, v32
	v_lshrrev_b32_e32 v72, 16, v5
	s_wait_dscnt 0x2
	v_lshrrev_b32_e32 v71, 16, v2
	v_lshrrev_b32_e32 v73, 16, v3
	s_wait_dscnt 0x1
	v_lshrrev_b32_e32 v58, 16, v29
	v_lshrrev_b32_e32 v74, 16, v30
	s_wait_dscnt 0x0
	v_lshrrev_b32_e32 v89, 16, v88
.LBB0_15:
	s_wait_alu 0xfffe
	s_or_b32 exec_lo, exec_lo, s1
	global_wb scope:SCOPE_SE
	s_barrier_signal -1
	s_barrier_wait -1
	global_inv scope:SCOPE_SE
	s_and_saveexec_b32 s1, s0
	s_cbranch_execz .LBB0_17
; %bb.16:
	v_mul_f16_e32 v54, v68, v88
	v_mul_f16_e32 v55, v67, v1
	;; [unrolled: 1-line block ×5, first 2 shown]
	v_fma_f16 v54, v18, v89, -v54
	v_fma_f16 v55, v12, v69, -v55
	v_mul_f16_e32 v69, v65, v31
	v_mul_f16_e32 v65, v65, v70
	;; [unrolled: 1-line block ×3, first 2 shown]
	v_fmac_f16_e32 v57, v12, v1
	v_fmac_f16_e32 v67, v18, v88
	v_add_f16_e32 v12, v54, v55
	v_fma_f16 v18, v17, v74, -v68
	v_fma_f16 v68, v13, v70, -v69
	v_fmac_f16_e32 v65, v13, v31
	v_fmac_f16_e32 v66, v17, v30
	v_mul_f16_e32 v30, v64, v29
	v_mul_f16_e32 v31, v63, v32
	;; [unrolled: 1-line block ×5, first 2 shown]
	v_sub_f16_e32 v70, v57, v67
	v_add_f16_e32 v74, v18, v68
	v_fma_f16 v30, v11, v58, -v30
	v_fma_f16 v31, v14, v92, -v31
	v_mul_f16_e32 v58, v64, v58
	v_mul_f16_e32 v64, v62, v3
	v_fmac_f16_e32 v63, v14, v32
	v_fma_f16 v14, v15, v7, -v77
	v_mul_f16_e32 v7, v61, v7
	v_fmamk_f16 v13, v70, 0x3482, v69
	v_mul_f16_e32 v17, 0x3abb, v74
	v_sub_f16_e32 v1, v65, v66
	v_add_f16_e32 v88, v30, v31
	v_fmac_f16_e32 v58, v11, v29
	v_fma_f16 v11, v10, v73, -v64
	v_mul_f16_e32 v29, v62, v73
	v_fmac_f16_e32 v7, v15, v4
	v_mul_f16_e32 v15, v60, v2
	v_mul_f16_e32 v64, v59, v5
	v_sub_f16_e32 v73, v55, v54
	v_add_f16_e32 v13, v6, v13
	v_fmamk_f16 v76, v1, 0xb853, v17
	v_mul_f16_e32 v32, 0xb93d, v88
	v_sub_f16_e32 v61, v63, v58
	v_add_f16_e32 v62, v11, v14
	v_fmac_f16_e32 v29, v10, v3
	v_fma_f16 v15, v9, v71, -v15
	v_fma_f16 v64, v8, v72, -v64
	v_mul_f16_e32 v59, v59, v72
	v_mul_f16_e32 v60, v60, v71
	v_add_f16_e32 v71, v67, v57
	v_mul_f16_e32 v72, 0xb482, v73
	v_sub_f16_e32 v77, v68, v18
	v_add_f16_e32 v3, v76, v13
	v_fmamk_f16 v4, v61, 0x3a0c, v32
	v_mul_f16_e32 v10, 0x36a6, v62
	v_sub_f16_e32 v13, v7, v29
	v_add_f16_e32 v76, v15, v64
	v_fmac_f16_e32 v59, v8, v5
	v_fmac_f16_e32 v60, v9, v2
	v_fmamk_f16 v2, v71, 0xbbad, v72
	v_add_f16_e32 v5, v66, v65
	v_mul_f16_e32 v8, 0x3853, v77
	v_sub_f16_e32 v89, v31, v30
	v_add_f16_e32 v3, v4, v3
	v_fmamk_f16 v4, v13, 0xbb47, v10
	v_mul_f16_e32 v9, 0xb08e, v76
	v_sub_f16_e32 v90, v59, v60
	v_add_f16_e32 v2, v0, v2
	v_fmamk_f16 v91, v5, 0x3abb, v8
	v_add_f16_e32 v92, v58, v63
	v_mul_f16_e32 v93, 0xba0c, v89
	v_add_f16_e32 v55, v55, v6
	v_add_f16_e32 v3, v4, v3
	v_fmamk_f16 v4, v90, 0x3beb, v9
	v_add_f16_e32 v2, v91, v2
	v_fmamk_f16 v91, v92, 0xb93d, v93
	v_mul_f16_e32 v94, 0xb93d, v12
	v_add_f16_e32 v55, v68, v55
	v_add_f16_e32 v3, v4, v3
	v_sub_f16_e32 v4, v14, v11
	v_add_f16_e32 v2, v91, v2
	v_fmamk_f16 v91, v70, 0x3a0c, v94
	v_mul_f16_e32 v95, 0xb08e, v74
	v_add_f16_e32 v31, v31, v55
	v_add_f16_e32 v96, v29, v7
	v_mul_f16_e32 v97, 0x3b47, v4
	v_sub_f16_e32 v98, v64, v15
	v_add_f16_e32 v91, v6, v91
	v_fmamk_f16 v99, v1, 0xbbeb, v95
	v_mul_f16_e32 v100, 0x3abb, v88
	v_add_f16_e32 v14, v14, v31
	v_fmamk_f16 v101, v96, 0x36a6, v97
	v_add_f16_e32 v102, v60, v59
	v_mul_f16_e32 v103, 0xbbeb, v98
	v_add_f16_e32 v91, v99, v91
	v_fmamk_f16 v99, v61, 0x3853, v100
	v_mul_f16_e32 v104, 0xbbad, v62
	v_add_f16_e32 v14, v64, v14
	v_add_f16_e32 v2, v101, v2
	v_fmamk_f16 v101, v102, 0xb08e, v103
	v_mul_f16_e32 v105, 0xba0c, v73
	v_add_f16_e32 v91, v99, v91
	v_fmamk_f16 v99, v13, 0x3482, v104
	v_mul_f16_e32 v106, 0x36a6, v76
	v_add_f16_e32 v14, v15, v14
	v_fmac_f16_e32 v69, 0xb482, v70
	v_add_f16_e32 v2, v101, v2
	v_fmamk_f16 v101, v71, 0xb93d, v105
	v_mul_f16_e32 v107, 0x3beb, v77
	v_add_f16_e32 v91, v99, v91
	v_fmamk_f16 v99, v90, 0xbb47, v106
	v_mul_f16_e32 v108, 0xb08e, v12
	v_add_f16_e32 v11, v11, v14
	v_add_f16_e32 v14, v6, v69
	v_fmac_f16_e32 v17, 0x3853, v1
	v_add_f16_e32 v101, v0, v101
	v_fmamk_f16 v109, v5, 0xb08e, v107
	v_mul_f16_e32 v110, 0xb853, v89
	v_add_f16_e32 v91, v99, v91
	v_fmamk_f16 v99, v70, 0x3beb, v108
	v_mul_f16_e32 v111, 0xbbad, v74
	v_add_f16_e32 v14, v17, v14
	v_fmac_f16_e32 v32, 0xba0c, v61
	v_add_f16_e32 v101, v109, v101
	v_fmamk_f16 v109, v92, 0x3abb, v110
	v_mul_f16_e32 v112, 0xb482, v4
	v_add_f16_e32 v99, v6, v99
	v_fmamk_f16 v113, v1, 0xb482, v111
	v_mul_f16_e32 v114, 0x36a6, v88
	v_fma_f16 v17, v71, 0xbbad, -v72
	v_add_f16_e32 v14, v32, v14
	v_fmac_f16_e32 v10, 0x3b47, v13
	v_add_f16_e32 v101, v109, v101
	v_fmamk_f16 v109, v96, 0xbbad, v112
	v_mul_f16_e32 v115, 0x3b47, v98
	v_add_f16_e32 v99, v113, v99
	v_fmamk_f16 v113, v61, 0xbb47, v114
	v_mul_f16_e32 v116, 0x3abb, v62
	v_add_f16_e32 v17, v0, v17
	v_fma_f16 v8, v5, 0x3abb, -v8
	v_fmac_f16_e32 v94, 0xba0c, v70
	v_add_f16_e32 v10, v10, v14
	v_fmac_f16_e32 v9, 0xbbeb, v90
	v_add_f16_e32 v101, v109, v101
	v_fmamk_f16 v109, v102, 0x36a6, v115
	v_mul_f16_e32 v117, 0xbbeb, v73
	v_add_f16_e32 v99, v113, v99
	v_fmamk_f16 v113, v13, 0x3853, v116
	v_mul_f16_e32 v118, 0xb93d, v76
	v_add_f16_e32 v11, v30, v11
	v_add_f16_e32 v8, v8, v17
	v_fma_f16 v14, v92, 0xb93d, -v93
	v_add_f16_e32 v17, v6, v94
	v_fmac_f16_e32 v95, 0x3beb, v1
	v_add_f16_e32 v9, v9, v10
	v_fma_f16 v10, v71, 0xb93d, -v105
	v_add_f16_e32 v101, v109, v101
	v_fmamk_f16 v109, v71, 0xb08e, v117
	v_mul_f16_e32 v119, 0x3482, v77
	v_add_f16_e32 v99, v113, v99
	v_fmamk_f16 v113, v90, 0x3a0c, v118
	v_mul_f16_e32 v120, 0x36a6, v12
	v_add_f16_e32 v57, v0, v57
	v_add_f16_e32 v11, v18, v11
	;; [unrolled: 1-line block ×3, first 2 shown]
	v_fma_f16 v14, v96, 0x36a6, -v97
	v_add_f16_e32 v17, v95, v17
	v_fmac_f16_e32 v100, 0xb853, v61
	v_add_f16_e32 v10, v0, v10
	v_fma_f16 v18, v5, 0xb08e, -v107
	v_add_f16_e32 v109, v0, v109
	v_fmamk_f16 v121, v5, 0xbbad, v119
	v_mul_f16_e32 v122, 0x3b47, v89
	v_add_f16_e32 v99, v113, v99
	v_fmamk_f16 v113, v70, 0x3b47, v120
	v_mul_f16_e32 v123, 0xb93d, v74
	v_add_f16_e32 v57, v65, v57
	v_add_f16_e32 v8, v14, v8
	v_fma_f16 v14, v102, 0xb08e, -v103
	v_add_f16_e32 v17, v100, v17
	v_fmac_f16_e32 v104, 0xb482, v13
	v_add_f16_e32 v10, v18, v10
	v_fma_f16 v18, v92, 0x3abb, -v110
	v_fmac_f16_e32 v108, 0xbbeb, v70
	v_add_f16_e32 v109, v121, v109
	v_fmamk_f16 v121, v92, 0x36a6, v122
	v_mul_f16_e32 v124, 0xb853, v4
	v_add_f16_e32 v113, v6, v113
	v_fmamk_f16 v125, v1, 0x3a0c, v123
	v_mul_f16_e32 v126, 0xbbad, v88
	v_mul_f16_e32 v65, 0xb853, v73
	v_add_f16_e32 v57, v63, v57
	v_add_f16_e32 v8, v14, v8
	;; [unrolled: 1-line block ×4, first 2 shown]
	v_fma_f16 v17, v96, 0xbbad, -v112
	v_add_f16_e32 v18, v6, v108
	v_fmac_f16_e32 v111, 0x3482, v1
	v_fma_f16 v30, v71, 0xb08e, -v117
	v_add_f16_e32 v109, v121, v109
	v_fmamk_f16 v121, v96, 0x3abb, v124
	v_mul_f16_e32 v127, 0xba0c, v98
	v_add_f16_e32 v113, v125, v113
	v_fmamk_f16 v125, v61, 0xb482, v126
	v_mul_f16_e64 v128, 0xb08e, v62
	v_fmamk_f16 v63, v71, 0x3abb, v65
	v_mul_f16_e32 v68, 0xbb47, v77
	v_add_f16_e32 v7, v7, v57
	v_add_f16_e32 v10, v17, v10
	v_fma_f16 v17, v102, 0x36a6, -v115
	v_add_f16_e32 v18, v111, v18
	v_fmac_f16_e32 v114, 0x3b47, v61
	v_add_f16_e32 v30, v0, v30
	v_fma_f16 v32, v5, 0xbbad, -v119
	v_fmac_f16_e32 v120, 0xbb47, v70
	v_add_f16_e32 v109, v121, v109
	v_fmamk_f16 v121, v102, 0xb93d, v127
	v_mul_f16_e64 v129, 0xbb47, v73
	v_add_f16_e32 v113, v125, v113
	v_fma_f16 v125, 0xbbeb, v13, v128
	v_mul_f16_e64 v130, 0x3abb, v76
	v_add_f16_e32 v55, v0, v63
	v_fmamk_f16 v57, v5, 0x36a6, v68
	v_mul_f16_e32 v63, 0xbbeb, v89
	v_add_f16_e32 v7, v59, v7
	v_add_f16_e32 v10, v17, v10
	;; [unrolled: 1-line block ×4, first 2 shown]
	v_fma_f16 v30, v92, 0x36a6, -v122
	v_add_f16_e32 v32, v6, v120
	v_fmac_f16_e32 v123, 0xba0c, v1
	v_add_f16_e32 v109, v121, v109
	v_fma_f16 v121, 0x36a6, v71, v129
	v_mul_f16_e64 v131, 0xba0c, v77
	v_add_f16_e32 v113, v125, v113
	v_fma_f16 v125, 0xb853, v90, v130
	v_mul_f16_e32 v12, 0x3abb, v12
	v_mul_f16_e64 v134, 0x3beb, v4
	v_add_f16_e32 v55, v57, v55
	v_fmamk_f16 v57, v92, 0xb08e, v63
	v_add_f16_e32 v7, v60, v7
	v_mul_f16_e32 v4, 0xba0c, v4
	v_add_f16_e32 v18, v30, v18
	v_fma_f16 v30, v96, 0x3abb, -v124
	v_add_f16_e32 v32, v123, v32
	v_fmac_f16_e32 v126, 0x3482, v61
	v_add_f16_e32 v121, v0, v121
	v_fma_f16 v132, 0xb93d, v5, v131
	v_mul_f16_e64 v133, 0x3482, v89
	v_add_f16_e32 v113, v125, v113
	v_fmamk_f16 v125, v70, 0x3853, v12
	v_mul_f16_e32 v74, 0x36a6, v74
	v_add_f16_e32 v55, v57, v55
	v_add_f16_e32 v7, v29, v7
	v_fmamk_f16 v15, v96, 0xb93d, v4
	v_mul_f16_e32 v29, 0xb482, v98
	v_add_f16_e32 v18, v30, v18
	v_fma_f16 v30, v102, 0xb93d, -v127
	v_add_f16_e32 v32, v126, v32
	v_fmac_f16_e64 v128, 0x3beb, v13
	v_add_f16_e64 v121, v132, v121
	v_fma_f16 v132, 0xbbad, v92, v133
	v_add_f16_e32 v125, v6, v125
	v_fma_f16 v135, 0x3b47, v1, v74
	v_mul_f16_e32 v88, 0xb08e, v88
	v_add_f16_e32 v15, v15, v55
	v_fmamk_f16 v55, v102, 0xbbad, v29
	v_add_f16_e32 v11, v54, v11
	v_fma_f16 v54, v71, 0x36a6, -v129
	v_add_f16_e32 v18, v30, v18
	v_fmac_f16_e32 v12, 0xb853, v70
	v_add_f16_e64 v30, v128, v32
	v_fma_f16 v32, v71, 0x3abb, -v65
	v_add_f16_e64 v121, v132, v121
	v_fma_f16 v132, 0xb08e, v96, v134
	v_mul_f16_e64 v136, 0x3853, v98
	v_add_f16_e64 v125, v135, v125
	v_fma_f16 v135, 0x3beb, v61, v88
	v_mul_f16_e32 v62, 0xb93d, v62
	v_add_f16_e32 v15, v55, v15
	v_add_f16_e32 v54, v0, v54
	v_fma_f16 v55, v5, 0xb93d, -v131
	v_add_f16_e32 v6, v6, v12
	v_fmac_f16_e32 v74, 0xbb47, v1
	v_add_f16_e32 v0, v0, v32
	v_fma_f16 v1, v5, 0x36a6, -v68
	v_add_f16_e64 v121, v132, v121
	v_fma_f16 v132, 0x3abb, v102, v136
	v_add_f16_e64 v125, v135, v125
	v_fma_f16 v135, 0x3a0c, v13, v62
	v_mul_f16_e32 v76, 0xbbad, v76
	v_add_f16_e32 v7, v58, v7
	v_add_f16_e32 v54, v55, v54
	v_fma_f16 v55, v92, 0xbbad, -v133
	v_add_f16_e32 v6, v74, v6
	v_fmac_f16_e32 v88, 0xbbeb, v61
	v_add_f16_e32 v0, v1, v0
	v_fma_f16 v1, v92, 0xb08e, -v63
	v_add_f16_e64 v73, v132, v121
	v_add_f16_e64 v121, v135, v125
	v_fmamk_f16 v31, v90, 0x3482, v76
	v_add_f16_e32 v7, v66, v7
	v_add_f16_e32 v5, v55, v54
	v_fma_f16 v12, v96, 0xb08e, -v134
	v_fmac_f16_e32 v116, 0xb853, v13
	v_add_f16_e32 v6, v88, v6
	v_fmac_f16_e32 v62, 0xba0c, v13
	v_add_f16_e32 v0, v1, v0
	v_fma_f16 v1, v96, 0xb93d, -v4
	v_add_f16_e32 v31, v31, v121
	v_add_f16_e32 v7, v67, v7
	;; [unrolled: 1-line block ×3, first 2 shown]
	v_mul_u32_u24_e32 v12, 0xa5, v56
	v_fmac_f16_e32 v106, 0x3b47, v90
	v_add_f16_e32 v17, v116, v17
	v_fmac_f16_e32 v118, 0xba0c, v90
	v_fmac_f16_e64 v130, 0x3853, v90
	v_fma_f16 v4, v102, 0x3abb, -v136
	v_add_f16_e32 v6, v62, v6
	v_fmac_f16_e32 v76, 0xb482, v90
	v_add_f16_e32 v0, v1, v0
	v_fma_f16 v1, v102, 0xbbad, -v29
	v_add_lshl_u32 v12, v12, v53, 2
	v_pack_b32_f16 v7, v7, v11
	v_pack_b32_f16 v11, v15, v31
	v_add_f16_e32 v14, v106, v14
	v_add_f16_e32 v17, v118, v17
	v_add_f16_e64 v13, v130, v30
	v_add_f16_e32 v4, v4, v5
	v_add_f16_e32 v5, v76, v6
	;; [unrolled: 1-line block ×3, first 2 shown]
	v_pack_b32_f16 v1, v73, v113
	v_pack_b32_f16 v6, v109, v99
	ds_store_2addr_b32 v12, v7, v11 offset1:15
	v_pack_b32_f16 v7, v101, v91
	v_pack_b32_f16 v2, v2, v3
	;; [unrolled: 1-line block ×7, first 2 shown]
	ds_store_2addr_b32 v12, v1, v6 offset0:30 offset1:45
	ds_store_2addr_b32 v12, v7, v2 offset0:60 offset1:75
	;; [unrolled: 1-line block ×4, first 2 shown]
	ds_store_b32 v12, v0 offset:600
.LBB0_17:
	s_wait_alu 0xfffe
	s_or_b32 exec_lo, exec_lo, s1
	v_add_nc_u32_e32 v10, 0x400, v33
	v_add_nc_u32_e32 v2, 0xf00, v33
	;; [unrolled: 1-line block ×3, first 2 shown]
	global_wb scope:SCOPE_SE
	s_wait_dscnt 0x0
	s_barrier_signal -1
	s_barrier_wait -1
	global_inv scope:SCOPE_SE
	ds_load_2addr_b32 v[0:1], v33 offset1:165
	ds_load_b32 v11, v33 offset:5280
	ds_load_2addr_b32 v[4:5], v10 offset0:74 offset1:239
	ds_load_2addr_b32 v[6:7], v2 offset0:30 offset1:195
	;; [unrolled: 1-line block ×3, first 2 shown]
	global_wb scope:SCOPE_SE
	s_wait_dscnt 0x0
	s_barrier_signal -1
	s_barrier_wait -1
	global_inv scope:SCOPE_SE
	s_mov_b32 s8, 0xef473283
	s_mov_b32 s9, 0x3f4610e4
	v_lshrrev_b32_e32 v14, 16, v11
	v_lshrrev_b32_e32 v15, 16, v5
	;; [unrolled: 1-line block ×4, first 2 shown]
	v_mul_f16_e32 v32, v78, v5
	v_mul_f16_e32 v53, v79, v6
	v_lshrrev_b32_e32 v29, 16, v7
	v_lshrrev_b32_e32 v31, 16, v9
	v_mul_f16_e32 v54, v78, v8
	v_mul_f16_e32 v56, v78, v15
	v_fma_f16 v15, v21, v15, -v32
	v_mul_f16_e32 v32, v79, v17
	v_fma_f16 v17, v22, v17, -v53
	;; [unrolled: 2-line block ×3, first 2 shown]
	v_mul_f16_e32 v54, v79, v29
	v_mul_f16_e32 v57, v87, v31
	v_fmac_f16_e32 v56, v21, v5
	v_fmac_f16_e32 v32, v22, v6
	;; [unrolled: 1-line block ×3, first 2 shown]
	v_mul_f16_e32 v8, v85, v11
	v_lshrrev_b32_e32 v12, 16, v0
	v_mul_f16_e32 v55, v79, v7
	v_fmac_f16_e32 v54, v22, v7
	v_mul_f16_e32 v5, v87, v9
	v_mul_f16_e32 v7, v85, v14
	v_fmac_f16_e32 v57, v19, v9
	v_add_f16_e32 v9, v56, v32
	v_fma_f16 v8, v20, v14, -v8
	v_add_f16_e32 v14, v15, v17
	v_fma_f16 v6, v22, v29, -v55
	v_fmac_f16_e32 v7, v20, v11
	v_add_f16_e32 v11, v0, v56
	v_fma_f16 v0, -0.5, v9, v0
	v_sub_f16_e32 v9, v15, v17
	v_add_f16_e32 v15, v12, v15
	v_fmac_f16_e32 v12, -0.5, v14
	v_sub_f16_e32 v14, v56, v32
	v_lshrrev_b32_e32 v13, 16, v1
	v_fma_f16 v5, v19, v31, -v5
	v_fmamk_f16 v19, v9, 0xbaee, v0
	v_fmac_f16_e32 v0, 0x3aee, v9
	v_add_f16_e32 v9, v15, v17
	v_add_f16_e32 v15, v53, v54
	v_fmamk_f16 v17, v14, 0x3aee, v12
	v_fmac_f16_e32 v12, 0xbaee, v14
	v_add_f16_e32 v14, v18, v6
	v_add_f16_e32 v20, v1, v53
	v_fmac_f16_e32 v1, -0.5, v15
	v_sub_f16_e32 v15, v18, v6
	v_add_f16_e32 v18, v13, v18
	v_fmac_f16_e32 v13, -0.5, v14
	v_sub_f16_e32 v14, v53, v54
	v_lshrrev_b32_e32 v30, 16, v4
	v_fmamk_f16 v21, v15, 0xbaee, v1
	v_fmac_f16_e32 v1, 0x3aee, v15
	v_add_f16_e32 v6, v18, v6
	v_add_f16_e32 v15, v57, v7
	v_fmamk_f16 v18, v14, 0x3aee, v13
	v_fmac_f16_e32 v13, 0xbaee, v14
	v_add_f16_e32 v14, v5, v8
	v_add_f16_e32 v22, v4, v57
	v_fmac_f16_e32 v4, -0.5, v15
	v_sub_f16_e32 v15, v5, v8
	v_add_f16_e32 v5, v30, v5
	v_fmac_f16_e32 v30, -0.5, v14
	v_sub_f16_e32 v14, v57, v7
	v_add_f16_e32 v11, v11, v32
	v_add_f16_e32 v20, v20, v54
	;; [unrolled: 1-line block ×3, first 2 shown]
	v_fmamk_f16 v22, v15, 0xbaee, v4
	v_add_f16_e32 v5, v5, v8
	v_fmamk_f16 v8, v14, 0x3aee, v30
	v_fmac_f16_e32 v4, 0x3aee, v15
	v_fmac_f16_e32 v30, 0xbaee, v14
	v_pack_b32_f16 v9, v11, v9
	v_pack_b32_f16 v11, v19, v17
	v_pack_b32_f16 v0, v0, v12
	v_pack_b32_f16 v6, v20, v6
	v_pack_b32_f16 v12, v21, v18
	v_pack_b32_f16 v1, v1, v13
	v_pack_b32_f16 v5, v7, v5
	v_pack_b32_f16 v7, v22, v8
	v_add_nc_u32_e32 v8, 0xf00, v75
	v_pack_b32_f16 v4, v4, v30
	ds_store_2addr_b32 v33, v9, v11 offset1:165
	ds_store_2addr_b32 v10, v0, v6 offset0:74 offset1:239
	ds_store_2addr_b32 v3, v12, v1 offset0:20 offset1:185
	ds_store_2addr_b32 v8, v5, v7 offset0:30 offset1:195
	ds_store_b32 v75, v4 offset:5280
	global_wb scope:SCOPE_SE
	s_wait_dscnt 0x0
	s_barrier_signal -1
	s_barrier_wait -1
	global_inv scope:SCOPE_SE
	ds_load_2addr_b32 v[0:1], v33 offset1:165
	ds_load_2addr_b32 v[4:5], v10 offset0:74 offset1:239
	ds_load_2addr_b32 v[6:7], v2 offset0:30 offset1:195
	;; [unrolled: 1-line block ×3, first 2 shown]
	ds_load_b32 v11, v33 offset:5280
	s_wait_dscnt 0x4
	v_lshrrev_b32_e32 v12, 16, v0
	s_wait_dscnt 0x3
	v_lshrrev_b32_e32 v13, 16, v5
	;; [unrolled: 2-line block ×4, first 2 shown]
	v_lshrrev_b32_e32 v18, 16, v7
	v_mul_f16_e32 v22, v86, v5
	v_mul_f16_e32 v20, v86, v13
	;; [unrolled: 1-line block ×3, first 2 shown]
	v_lshrrev_b32_e32 v21, 16, v9
	s_wait_dscnt 0x0
	v_lshrrev_b32_e32 v29, 16, v11
	v_fma_f16 v13, v27, v13, -v22
	v_fmac_f16_e32 v20, v27, v5
	v_mul_f16_e32 v5, v84, v6
	v_mul_f16_e32 v22, v83, v17
	v_fmac_f16_e32 v30, v28, v6
	v_mul_f16_e32 v6, v83, v8
	v_lshrrev_b32_e32 v15, 16, v1
	v_fma_f16 v5, v28, v14, -v5
	v_mul_f16_e32 v14, v82, v18
	v_fmac_f16_e32 v22, v25, v8
	v_mul_f16_e32 v8, v82, v7
	v_fma_f16 v6, v25, v17, -v6
	v_mul_f16_e32 v17, v81, v21
	v_fmac_f16_e32 v14, v26, v7
	v_mul_f16_e32 v7, v81, v9
	;; [unrolled: 4-line block ×3, first 2 shown]
	v_fma_f16 v7, v23, v21, -v7
	v_add_f16_e32 v21, v20, v30
	v_add_f16_e32 v23, v13, v5
	v_fmac_f16_e32 v18, v24, v11
	v_add_f16_e32 v11, v0, v20
	v_sub_f16_e32 v20, v20, v30
	v_fma_f16 v0, -0.5, v21, v0
	v_sub_f16_e32 v21, v13, v5
	v_add_f16_e32 v13, v12, v13
	v_fmac_f16_e32 v12, -0.5, v23
	v_fma_f16 v9, v24, v29, -v9
	v_add_f16_e32 v24, v1, v22
	v_fmamk_f16 v23, v21, 0xbaee, v0
	v_add_f16_e32 v5, v13, v5
	v_add_f16_e32 v13, v22, v14
	v_fmac_f16_e32 v0, 0x3aee, v21
	v_fmamk_f16 v21, v20, 0x3aee, v12
	v_fmac_f16_e32 v12, 0xbaee, v20
	v_add_f16_e32 v20, v6, v8
	v_fmac_f16_e32 v1, -0.5, v13
	v_sub_f16_e32 v13, v6, v8
	v_add_f16_e32 v6, v15, v6
	v_add_f16_e32 v24, v24, v14
	v_fmac_f16_e32 v15, -0.5, v20
	v_sub_f16_e32 v14, v22, v14
	v_lshrrev_b32_e32 v19, 16, v4
	v_add_f16_e32 v6, v6, v8
	v_add_f16_e32 v8, v17, v18
	v_fmamk_f16 v20, v13, 0xbaee, v1
	v_fmac_f16_e32 v1, 0x3aee, v13
	v_fmamk_f16 v13, v14, 0x3aee, v15
	v_fmac_f16_e32 v15, 0xbaee, v14
	v_add_f16_e32 v14, v7, v9
	v_add_f16_e32 v22, v4, v17
	v_fmac_f16_e32 v4, -0.5, v8
	v_sub_f16_e32 v8, v7, v9
	v_add_f16_e32 v7, v19, v7
	v_fmac_f16_e32 v19, -0.5, v14
	v_sub_f16_e32 v14, v17, v18
	v_add_f16_e32 v11, v11, v30
	v_add_f16_e32 v17, v22, v18
	;; [unrolled: 1-line block ×3, first 2 shown]
	v_fmamk_f16 v18, v8, 0xbaee, v4
	v_fmac_f16_e32 v4, 0x3aee, v8
	v_fmamk_f16 v8, v14, 0x3aee, v19
	v_fmac_f16_e32 v19, 0xbaee, v14
	v_pack_b32_f16 v9, v23, v21
	v_pack_b32_f16 v0, v0, v12
	;; [unrolled: 1-line block ×9, first 2 shown]
	v_add_nc_u32_e32 v12, 0x1200, v33
	ds_store_b32 v33, v9 offset:1980
	ds_store_b32 v33, v0 offset:3960
	ds_store_2addr_b32 v33, v5, v6 offset1:165
	ds_store_b32 v33, v7 offset:1320
	ds_store_2addr_b32 v3, v11, v8 offset0:20 offset1:185
	ds_store_2addr_b32 v12, v1, v4 offset0:3 offset1:168
	global_wb scope:SCOPE_SE
	s_wait_dscnt 0x0
	s_barrier_signal -1
	s_barrier_wait -1
	global_inv scope:SCOPE_SE
	ds_load_2addr_b32 v[4:5], v33 offset1:165
	s_wait_dscnt 0x0
	v_lshrrev_b32_e32 v6, 16, v4
	s_delay_alu instid0(VALU_DEP_1) | instskip(NEXT) | instid1(VALU_DEP_1)
	v_mul_f16_e32 v0, v52, v6
	v_fmac_f16_e32 v0, v50, v4
	v_mul_f16_e32 v4, v52, v4
	s_delay_alu instid0(VALU_DEP_2) | instskip(NEXT) | instid1(VALU_DEP_2)
	v_cvt_f32_f16_e32 v0, v0
	v_fma_f16 v4, v50, v6, -v4
	s_delay_alu instid0(VALU_DEP_2) | instskip(NEXT) | instid1(VALU_DEP_2)
	v_cvt_f64_f32_e32 v[0:1], v0
	v_cvt_f32_f16_e32 v4, v4
	s_delay_alu instid0(VALU_DEP_1) | instskip(SKIP_1) | instid1(VALU_DEP_3)
	v_cvt_f64_f32_e32 v[6:7], v4
	s_wait_alu 0xfffe
	v_mul_f64_e32 v[8:9], s[8:9], v[0:1]
	ds_load_2addr_b32 v[0:1], v10 offset0:74 offset1:239
	v_mul_f64_e32 v[6:7], s[8:9], v[6:7]
	s_wait_dscnt 0x0
	v_lshrrev_b32_e32 v4, 16, v1
	v_mul_f16_e32 v17, v51, v1
	s_delay_alu instid0(VALU_DEP_2) | instskip(NEXT) | instid1(VALU_DEP_2)
	v_mul_f16_e32 v10, v51, v4
	v_fma_f16 v17, v48, v4, -v17
	s_delay_alu instid0(VALU_DEP_2) | instskip(NEXT) | instid1(VALU_DEP_1)
	v_fmac_f16_e32 v10, v48, v1
	v_cvt_f32_f16_e32 v10, v10
	v_and_or_b32 v8, 0x1ff, v9, v8
	v_lshrrev_b32_e32 v12, 8, v9
	v_bfe_u32 v14, v9, 20, 11
	s_delay_alu instid0(VALU_DEP_4) | instskip(NEXT) | instid1(VALU_DEP_4)
	v_cvt_f64_f32_e32 v[10:11], v10
	v_cmp_ne_u32_e32 vcc_lo, 0, v8
	v_and_or_b32 v6, 0x1ff, v7, v6
	s_delay_alu instid0(VALU_DEP_4)
	v_sub_nc_u32_e32 v15, 0x3f1, v14
	v_lshrrev_b32_e32 v19, 8, v7
	v_bfe_u32 v21, v7, 20, 11
	s_wait_alu 0xfffd
	v_cndmask_b32_e64 v8, 0, 1, vcc_lo
	v_cmp_ne_u32_e32 vcc_lo, 0, v6
	v_med3_i32 v15, v15, 0, 13
	s_delay_alu instid0(VALU_DEP_3) | instskip(SKIP_3) | instid1(VALU_DEP_3)
	v_and_or_b32 v8, 0xffe, v12, v8
	v_mad_co_u64_u32 v[12:13], null, s6, v16, 0
	s_wait_alu 0xfffd
	v_cndmask_b32_e64 v6, 0, 1, vcc_lo
	v_or_b32_e32 v18, 0x1000, v8
	v_cmp_ne_u32_e64 s1, 0, v8
	s_delay_alu instid0(VALU_DEP_3) | instskip(SKIP_1) | instid1(VALU_DEP_4)
	v_and_or_b32 v6, 0xffe, v19, v6
	v_mov_b32_e32 v4, v13
	v_lshrrev_b32_e32 v20, v15, v18
	v_add_nc_u32_e32 v19, 0xfffffc10, v14
	s_delay_alu instid0(VALU_DEP_4) | instskip(NEXT) | instid1(VALU_DEP_3)
	v_or_b32_e32 v22, 0x1000, v6
	v_lshlrev_b32_e32 v13, v15, v20
	v_cvt_f32_f16_e32 v15, v17
	v_sub_nc_u32_e32 v17, 0x3f1, v21
	v_add_nc_u32_e32 v21, 0xfffffc10, v21
	s_delay_alu instid0(VALU_DEP_4) | instskip(NEXT) | instid1(VALU_DEP_4)
	v_cmp_ne_u32_e32 vcc_lo, v13, v18
	v_cvt_f64_f32_e32 v[13:14], v15
	s_delay_alu instid0(VALU_DEP_4)
	v_med3_i32 v17, v17, 0, 13
	v_lshl_or_b32 v15, v19, 12, v8
	v_lshl_or_b32 v24, v21, 12, v6
	s_wait_alu 0xfffd
	v_cndmask_b32_e64 v18, 0, 1, vcc_lo
	v_cmp_gt_i32_e32 vcc_lo, 1, v19
	v_lshrrev_b32_e32 v23, v17, v22
	v_mul_f64_e32 v[10:11], s[8:9], v[10:11]
	s_wait_alu 0xf1ff
	v_cndmask_b32_e64 v8, 0, 1, s1
	v_or_b32_e32 v18, v20, v18
	v_lshlrev_b32_e32 v17, v17, v23
	s_delay_alu instid0(VALU_DEP_3) | instskip(SKIP_1) | instid1(VALU_DEP_3)
	v_lshl_or_b32 v8, v8, 9, 0x7c00
	s_wait_alu 0xfffd
	v_cndmask_b32_e32 v18, v15, v18, vcc_lo
	v_mad_co_u64_u32 v[15:16], null, s7, v16, v[4:5]
	v_cmp_ne_u32_e32 vcc_lo, v17, v22
	v_lshrrev_b32_e32 v22, 16, v9
	s_delay_alu instid0(VALU_DEP_4) | instskip(SKIP_3) | instid1(VALU_DEP_2)
	v_and_b32_e32 v4, 7, v18
	s_mul_u64 s[6:7], s[4:5], 0x7bc
	s_wait_alu 0xfffd
	v_cndmask_b32_e64 v17, 0, 1, vcc_lo
	v_cmp_lt_i32_e32 vcc_lo, 5, v4
	v_cmp_eq_u32_e64 s0, 3, v4
	v_lshrrev_b32_e32 v4, 2, v18
	s_delay_alu instid0(VALU_DEP_4) | instskip(NEXT) | instid1(VALU_DEP_3)
	v_or_b32_e32 v17, v23, v17
	s_or_b32 vcc_lo, s0, vcc_lo
	s_wait_alu 0xfffe
	s_delay_alu instid0(VALU_DEP_2)
	v_add_co_ci_u32_e32 v4, vcc_lo, 0, v4, vcc_lo
	v_cmp_gt_i32_e32 vcc_lo, 1, v21
	s_wait_alu 0xfffd
	v_cndmask_b32_e32 v17, v24, v17, vcc_lo
	v_cmp_gt_i32_e32 vcc_lo, 31, v19
	v_lshrrev_b32_e32 v24, 16, v5
	s_delay_alu instid0(VALU_DEP_3)
	v_and_b32_e32 v18, 7, v17
	s_wait_alu 0xfffd
	v_cndmask_b32_e32 v4, 0x7c00, v4, vcc_lo
	v_cmp_eq_u32_e32 vcc_lo, 0x40f, v19
	v_and_or_b32 v10, 0x1ff, v11, v10
	v_cmp_eq_u32_e64 s0, 3, v18
	s_wait_alu 0xfffd
	v_cndmask_b32_e32 v4, v4, v8, vcc_lo
	v_cmp_lt_i32_e32 vcc_lo, 5, v18
	v_mul_f64_e32 v[8:9], s[8:9], v[13:14]
	v_lshrrev_b32_e32 v13, 2, v17
	v_mad_co_u64_u32 v[18:19], null, s4, v45, 0
	s_or_b32 vcc_lo, s0, vcc_lo
	v_and_or_b32 v14, 0x8000, v22, v4
	s_wait_alu 0xfffe
	v_add_co_ci_u32_e32 v4, vcc_lo, 0, v13, vcc_lo
	v_cmp_ne_u32_e32 vcc_lo, 0, v6
	v_lshrrev_b32_e32 v13, 8, v11
	v_bfe_u32 v22, v11, 20, 11
	v_and_b32_e32 v14, 0xffff, v14
	s_wait_alu 0xfffd
	v_cndmask_b32_e64 v6, 0, 1, vcc_lo
	v_cmp_gt_i32_e32 vcc_lo, 31, v21
	s_delay_alu instid0(VALU_DEP_2)
	v_lshl_or_b32 v6, v6, 9, 0x7c00
	s_wait_alu 0xfffd
	v_cndmask_b32_e32 v4, 0x7c00, v4, vcc_lo
	v_cmp_ne_u32_e32 vcc_lo, 0, v10
	s_wait_alu 0xfffd
	v_cndmask_b32_e64 v10, 0, 1, vcc_lo
	v_cmp_eq_u32_e32 vcc_lo, 0x40f, v21
	s_delay_alu instid0(VALU_DEP_2) | instskip(SKIP_4) | instid1(VALU_DEP_3)
	v_and_or_b32 v10, 0xffe, v13, v10
	s_wait_alu 0xfffd
	v_dual_cndmask_b32 v21, v4, v6 :: v_dual_mov_b32 v4, v19
	v_sub_nc_u32_e32 v13, 0x3f1, v22
	v_lshrrev_b32_e32 v19, 16, v7
	v_mad_co_u64_u32 v[6:7], null, s5, v45, v[4:5]
	s_delay_alu instid0(VALU_DEP_3)
	v_med3_i32 v7, v13, 0, 13
	v_mov_b32_e32 v13, v15
	ds_load_2addr_b32 v[1:2], v2 offset0:30 offset1:195
	v_or_b32_e32 v4, 0x1000, v10
	v_and_or_b32 v15, 0x8000, v19, v21
	v_and_or_b32 v8, 0x1ff, v9, v8
	v_mov_b32_e32 v19, v6
	s_delay_alu instid0(VALU_DEP_4) | instskip(NEXT) | instid1(VALU_DEP_4)
	v_lshrrev_b32_e32 v21, v7, v4
	v_lshl_or_b32 v23, v15, 16, v14
	s_delay_alu instid0(VALU_DEP_2) | instskip(SKIP_1) | instid1(VALU_DEP_2)
	v_lshlrev_b32_e32 v14, v7, v21
	v_lshlrev_b64_e32 v[6:7], 2, v[12:13]
	v_cmp_ne_u32_e32 vcc_lo, v14, v4
	s_wait_dscnt 0x0
	v_lshrrev_b32_e32 v20, 16, v1
	s_wait_alu 0xfffd
	v_cndmask_b32_e64 v4, 0, 1, vcc_lo
	v_cmp_ne_u32_e32 vcc_lo, 0, v8
	s_delay_alu instid0(VALU_DEP_3) | instskip(NEXT) | instid1(VALU_DEP_3)
	v_mul_f16_e32 v16, v49, v20
	v_or_b32_e32 v4, v21, v4
	s_wait_alu 0xfffd
	v_cndmask_b32_e64 v8, 0, 1, vcc_lo
	s_delay_alu instid0(VALU_DEP_3) | instskip(SKIP_1) | instid1(VALU_DEP_2)
	v_fmac_f16_e32 v16, v47, v1
	v_mul_f16_e32 v1, v49, v1
	v_cvt_f32_f16_e32 v16, v16
	s_delay_alu instid0(VALU_DEP_2) | instskip(SKIP_2) | instid1(VALU_DEP_4)
	v_fma_f16 v1, v47, v20, -v1
	v_add_nc_u32_e32 v20, 0xfffffc10, v22
	v_bfe_u32 v22, v9, 20, 11
	v_cvt_f64_f32_e32 v[16:17], v16
	s_delay_alu instid0(VALU_DEP_4) | instskip(NEXT) | instid1(VALU_DEP_4)
	v_cvt_f32_f16_e32 v1, v1
	v_cmp_gt_i32_e32 vcc_lo, 1, v20
	s_delay_alu instid0(VALU_DEP_4) | instskip(NEXT) | instid1(VALU_DEP_3)
	v_sub_nc_u32_e32 v21, 0x3f1, v22
	v_cvt_f64_f32_e32 v[14:15], v1
	v_lshl_or_b32 v1, v20, 12, v10
	s_wait_alu 0xfffd
	s_delay_alu instid0(VALU_DEP_1)
	v_cndmask_b32_e32 v1, v1, v4, vcc_lo
	v_add_co_u32 v6, vcc_lo, s2, v6
	s_wait_alu 0xfffd
	v_add_co_ci_u32_e32 v7, vcc_lo, s3, v7, vcc_lo
	v_mul_f64_e32 v[12:13], s[8:9], v[16:17]
	v_lshrrev_b32_e32 v16, 8, v9
	v_lshrrev_b32_e32 v9, 16, v9
	s_delay_alu instid0(VALU_DEP_2)
	v_and_or_b32 v8, 0xffe, v16, v8
	v_lshlrev_b64_e32 v[16:17], 2, v[18:19]
	v_med3_i32 v18, v21, 0, 13
	v_and_b32_e32 v19, 7, v1
	v_lshrrev_b32_e32 v1, 2, v1
	v_or_b32_e32 v4, 0x1000, v8
	v_mul_f64_e32 v[14:15], s[8:9], v[14:15]
	v_add_co_u32 v6, vcc_lo, v6, v16
	s_wait_alu 0xfffd
	v_add_co_ci_u32_e32 v7, vcc_lo, v7, v17, vcc_lo
	v_lshrrev_b32_e32 v21, v18, v4
	v_cmp_lt_i32_e32 vcc_lo, 5, v19
	v_cmp_eq_u32_e64 s0, 3, v19
	v_mul_f16_e32 v17, v46, v24
	global_store_b32 v[6:7], v23, off
	v_lshlrev_b32_e32 v16, v18, v21
	v_add_nc_u32_e32 v18, 0xfffffc10, v22
	s_or_b32 vcc_lo, s0, vcc_lo
	v_fmac_f16_e32 v17, v44, v5
	s_wait_alu 0xfffe
	v_add_co_ci_u32_e32 v1, vcc_lo, 0, v1, vcc_lo
	v_cmp_ne_u32_e64 s1, v16, v4
	v_lshl_or_b32 v19, v18, 12, v8
	v_cvt_f32_f16_e32 v16, v17
	v_mul_f16_e32 v5, v46, v5
	s_wait_alu 0xf1ff
	v_cndmask_b32_e64 v4, 0, 1, s1
	s_delay_alu instid0(VALU_DEP_3) | instskip(NEXT) | instid1(VALU_DEP_3)
	v_cvt_f64_f32_e32 v[16:17], v16
	v_fma_f16 v5, v44, v24, -v5
	v_and_or_b32 v12, 0x1ff, v13, v12
	s_delay_alu instid0(VALU_DEP_4)
	v_or_b32_e32 v4, v21, v4
	v_lshrrev_b32_e32 v21, 8, v13
	v_bfe_u32 v22, v13, 20, 11
	v_cvt_f32_f16_e32 v5, v5
	v_cmp_ne_u32_e32 vcc_lo, 0, v12
	s_wait_alu 0xfffd
	v_cndmask_b32_e64 v12, 0, 1, vcc_lo
	v_cmp_ne_u32_e32 vcc_lo, 0, v10
	v_and_or_b32 v14, 0x1ff, v15, v14
	v_bfe_u32 v24, v15, 20, 11
	s_delay_alu instid0(VALU_DEP_4) | instskip(SKIP_3) | instid1(VALU_DEP_3)
	v_and_or_b32 v12, 0xffe, v21, v12
	s_wait_alu 0xfffd
	v_cndmask_b32_e64 v10, 0, 1, vcc_lo
	v_cmp_gt_i32_e32 vcc_lo, 1, v18
	v_or_b32_e32 v25, 0x1000, v12
	s_delay_alu instid0(VALU_DEP_3) | instskip(SKIP_4) | instid1(VALU_DEP_3)
	v_lshl_or_b32 v10, v10, 9, 0x7c00
	s_wait_alu 0xfffd
	v_cndmask_b32_e32 v4, v19, v4, vcc_lo
	v_cmp_gt_i32_e32 vcc_lo, 31, v20
	v_sub_nc_u32_e32 v19, 0x3f1, v22
	v_and_b32_e32 v21, 7, v4
	s_wait_alu 0xfffd
	v_cndmask_b32_e32 v1, 0x7c00, v1, vcc_lo
	v_cmp_eq_u32_e32 vcc_lo, 0x40f, v20
	v_med3_i32 v19, v19, 0, 13
	v_lshrrev_b32_e32 v4, 2, v4
	v_cmp_eq_u32_e64 s0, 3, v21
	s_wait_alu 0xfffd
	v_cndmask_b32_e32 v1, v1, v10, vcc_lo
	v_cmp_lt_i32_e32 vcc_lo, 5, v21
	v_lshrrev_b32_e32 v20, v19, v25
	v_lshrrev_b32_e32 v21, 16, v11
	v_cvt_f64_f32_e32 v[10:11], v5
	v_mul_f64_e32 v[16:17], s[8:9], v[16:17]
	s_or_b32 vcc_lo, s0, vcc_lo
	v_lshlrev_b32_e32 v19, v19, v20
	s_wait_alu 0xfffe
	v_add_co_ci_u32_e32 v4, vcc_lo, 0, v4, vcc_lo
	v_cmp_ne_u32_e32 vcc_lo, 0, v8
	v_and_or_b32 v1, 0x8000, v21, v1
	s_wait_alu 0xfffd
	v_cndmask_b32_e64 v8, 0, 1, vcc_lo
	v_cmp_ne_u32_e32 vcc_lo, v19, v25
	v_add_nc_u32_e32 v19, 0xfffffc10, v22
	v_lshrrev_b32_e32 v22, 8, v15
	v_and_b32_e32 v1, 0xffff, v1
	v_lshl_or_b32 v8, v8, 9, 0x7c00
	s_wait_alu 0xfffd
	v_cndmask_b32_e64 v5, 0, 1, vcc_lo
	v_cmp_gt_i32_e32 vcc_lo, 31, v18
	s_delay_alu instid0(VALU_DEP_2)
	v_or_b32_e32 v5, v20, v5
	s_wait_alu 0xfffd
	v_cndmask_b32_e32 v4, 0x7c00, v4, vcc_lo
	v_cmp_ne_u32_e32 vcc_lo, 0, v14
	v_lshl_or_b32 v20, v19, 12, v12
	s_wait_alu 0xfffd
	v_cndmask_b32_e64 v14, 0, 1, vcc_lo
	v_cmp_eq_u32_e32 vcc_lo, 0x40f, v18
	s_delay_alu instid0(VALU_DEP_2)
	v_and_or_b32 v14, 0xffe, v22, v14
	s_wait_alu 0xfffd
	v_cndmask_b32_e32 v4, v4, v8, vcc_lo
	v_cmp_gt_i32_e32 vcc_lo, 1, v19
	v_sub_nc_u32_e32 v8, 0x3f1, v24
	v_bfe_u32 v22, v17, 20, 11
	s_delay_alu instid0(VALU_DEP_4)
	v_and_or_b32 v9, 0x8000, v9, v4
	s_wait_alu 0xfffd
	v_cndmask_b32_e32 v5, v20, v5, vcc_lo
	v_or_b32_e32 v20, 0x1000, v14
	v_med3_i32 v8, v8, 0, 13
	ds_load_2addr_b32 v[3:4], v3 offset0:20 offset1:185
	v_lshl_or_b32 v21, v9, 16, v1
	v_and_b32_e32 v18, 7, v5
	v_lshrrev_b32_e32 v5, 2, v5
	s_delay_alu instid0(VALU_DEP_2) | instskip(SKIP_2) | instid1(VALU_DEP_2)
	v_cmp_lt_i32_e32 vcc_lo, 5, v18
	v_cmp_eq_u32_e64 s0, 3, v18
	v_lshrrev_b32_e32 v18, v8, v20
	s_or_b32 vcc_lo, s0, vcc_lo
	s_delay_alu instid0(VALU_DEP_1)
	v_lshlrev_b32_e32 v1, v8, v18
	s_wait_alu 0xfffe
	v_add_co_ci_u32_e32 v5, vcc_lo, 0, v5, vcc_lo
	v_mul_f64_e32 v[8:9], s[8:9], v[10:11]
	v_and_or_b32 v11, 0x1ff, v17, v16
	v_cmp_ne_u32_e32 vcc_lo, v1, v20
	v_add_nc_u32_e32 v20, 0xfffffc10, v24
	s_wait_dscnt 0x0
	v_lshrrev_b32_e32 v16, 16, v3
	s_wait_alu 0xfffd
	v_cndmask_b32_e64 v1, 0, 1, vcc_lo
	v_cmp_gt_i32_e32 vcc_lo, 31, v19
	v_lshl_or_b32 v10, v20, 12, v14
	s_delay_alu instid0(VALU_DEP_3)
	v_or_b32_e32 v1, v18, v1
	s_wait_alu 0xfffd
	v_cndmask_b32_e32 v5, 0x7c00, v5, vcc_lo
	v_cmp_ne_u32_e32 vcc_lo, 0, v12
	v_mul_f16_e32 v18, v43, v16
	s_wait_alu 0xfffd
	v_cndmask_b32_e64 v12, 0, 1, vcc_lo
	v_cmp_gt_i32_e32 vcc_lo, 1, v20
	s_delay_alu instid0(VALU_DEP_3) | instskip(SKIP_1) | instid1(VALU_DEP_4)
	v_fmac_f16_e32 v18, v42, v3
	v_mul_f16_e32 v3, v43, v3
	v_lshl_or_b32 v12, v12, 9, 0x7c00
	s_wait_alu 0xfffd
	v_cndmask_b32_e32 v1, v10, v1, vcc_lo
	v_cmp_ne_u32_e32 vcc_lo, 0, v11
	v_lshrrev_b32_e32 v11, 8, v17
	v_fma_f16 v3, v42, v16, -v3
	v_add_nc_u32_e32 v16, 0xfffffc10, v22
	v_and_b32_e32 v23, 7, v1
	s_wait_alu 0xfffd
	v_cndmask_b32_e64 v10, 0, 1, vcc_lo
	v_cmp_eq_u32_e32 vcc_lo, 0x40f, v19
	v_lshrrev_b32_e32 v1, 2, v1
	v_cvt_f32_f16_e32 v3, v3
	v_cmp_eq_u32_e64 s0, 3, v23
	v_and_or_b32 v24, 0xffe, v11, v10
	v_sub_nc_u32_e32 v10, 0x3f1, v22
	s_wait_alu 0xfffd
	v_cndmask_b32_e32 v19, v5, v12, vcc_lo
	v_cmp_lt_i32_e32 vcc_lo, 5, v23
	v_cvt_f32_f16_e32 v5, v18
	v_or_b32_e32 v12, 0x1000, v24
	v_med3_i32 v18, v10, 0, 13
	v_and_or_b32 v8, 0x1ff, v9, v8
	s_or_b32 vcc_lo, s0, vcc_lo
	v_cvt_f64_f32_e32 v[10:11], v5
	s_wait_alu 0xfffe
	v_add_co_ci_u32_e32 v1, vcc_lo, 0, v1, vcc_lo
	v_lshrrev_b32_e32 v5, v18, v12
	v_cmp_ne_u32_e32 vcc_lo, 0, v14
	v_lshrrev_b32_e32 v23, 16, v13
	v_bfe_u32 v25, v9, 20, 11
	v_lshl_or_b32 v22, v16, 12, v24
	v_lshlrev_b32_e32 v13, v18, v5
	s_wait_alu 0xfffd
	v_cndmask_b32_e64 v14, 0, 1, vcc_lo
	v_cmp_ne_u32_e32 vcc_lo, 0, v8
	v_lshrrev_b32_e32 v18, 8, v9
	s_wait_alu 0xfffd
	v_cndmask_b32_e64 v8, 0, 1, vcc_lo
	v_cmp_ne_u32_e32 vcc_lo, v13, v12
	s_delay_alu instid0(VALU_DEP_2)
	v_and_or_b32 v18, 0xffe, v18, v8
	s_wait_alu 0xfffd
	v_cndmask_b32_e64 v12, 0, 1, vcc_lo
	v_sub_nc_u32_e32 v8, 0x3f1, v25
	v_cmp_gt_i32_e32 vcc_lo, 31, v20
	v_or_b32_e32 v26, 0x1000, v18
	s_delay_alu instid0(VALU_DEP_4) | instskip(NEXT) | instid1(VALU_DEP_4)
	v_or_b32_e32 v5, v5, v12
	v_med3_i32 v8, v8, 0, 13
	s_wait_alu 0xfffd
	v_cndmask_b32_e32 v1, 0x7c00, v1, vcc_lo
	v_cmp_gt_i32_e32 vcc_lo, 1, v16
	v_cvt_f64_f32_e32 v[12:13], v3
	v_lshl_or_b32 v3, v14, 9, 0x7c00
	s_wait_alu 0xfffd
	v_cndmask_b32_e32 v14, v22, v5, vcc_lo
	v_lshrrev_b32_e32 v22, v8, v26
	v_cmp_eq_u32_e32 vcc_lo, 0x40f, v20
	v_mul_f64_e32 v[10:11], s[8:9], v[10:11]
	s_wait_alu 0xfffd
	s_delay_alu instid0(VALU_DEP_3) | instskip(SKIP_3) | instid1(VALU_DEP_4)
	v_dual_cndmask_b32 v1, v1, v3 :: v_dual_lshlrev_b32 v8, v8, v22
	v_lshrrev_b32_e32 v3, 16, v15
	v_and_b32_e32 v15, 7, v14
	v_add_co_u32 v5, vcc_lo, v6, s6
	v_cmp_ne_u32_e64 s0, v8, v26
	s_wait_alu 0xfffd
	v_add_co_ci_u32_e32 v6, vcc_lo, s7, v7, vcc_lo
	v_and_or_b32 v7, 0x8000, v23, v19
	v_and_or_b32 v1, 0x8000, v3, v1
	v_cmp_lt_i32_e32 vcc_lo, 5, v15
	s_wait_alu 0xf1ff
	v_cndmask_b32_e64 v3, 0, 1, s0
	v_cmp_eq_u32_e64 s0, 3, v15
	v_and_b32_e32 v15, 0xffff, v7
	v_lshrrev_b32_e32 v7, 2, v14
	v_add_nc_u32_e32 v19, 0xfffffc10, v25
	v_or_b32_e32 v3, v22, v3
	s_or_b32 vcc_lo, s0, vcc_lo
	v_lshrrev_b32_e32 v22, 16, v2
	s_wait_alu 0xfffe
	v_add_co_ci_u32_e32 v7, vcc_lo, 0, v7, vcc_lo
	v_cmp_ne_u32_e32 vcc_lo, 0, v24
	v_lshl_or_b32 v8, v19, 12, v18
	v_lshl_or_b32 v15, v1, 16, v15
	v_mul_f16_e32 v1, v41, v22
	s_wait_alu 0xfffd
	v_cndmask_b32_e64 v14, 0, 1, vcc_lo
	v_cmp_gt_i32_e32 vcc_lo, 1, v19
	s_delay_alu instid0(VALU_DEP_3) | instskip(NEXT) | instid1(VALU_DEP_3)
	v_fmac_f16_e32 v1, v40, v2
	v_lshl_or_b32 v14, v14, 9, 0x7c00
	s_wait_alu 0xfffd
	v_cndmask_b32_e32 v3, v8, v3, vcc_lo
	v_cmp_gt_i32_e32 vcc_lo, 31, v16
	v_cvt_f32_f16_e32 v1, v1
	v_and_or_b32 v10, 0x1ff, v11, v10
	s_wait_alu 0xfffd
	v_cndmask_b32_e32 v20, 0x7c00, v7, vcc_lo
	v_mul_f64_e32 v[7:8], s[8:9], v[12:13]
	v_and_b32_e32 v12, 7, v3
	v_cmp_eq_u32_e32 vcc_lo, 0x40f, v16
	v_lshrrev_b32_e32 v3, 2, v3
	v_lshrrev_b32_e32 v16, 16, v17
	;; [unrolled: 1-line block ×3, first 2 shown]
	v_cmp_eq_u32_e64 s0, 3, v12
	s_wait_alu 0xfffd
	v_cndmask_b32_e32 v14, v20, v14, vcc_lo
	v_cmp_lt_i32_e32 vcc_lo, 5, v12
	v_cvt_f64_f32_e32 v[12:13], v1
	v_bfe_u32 v20, v11, 20, 11
	v_mul_f16_e32 v1, v41, v2
	v_and_or_b32 v14, 0x8000, v16, v14
	s_or_b32 vcc_lo, s0, vcc_lo
	s_mul_i32 s0, s5, 0xfffff31c
	s_wait_alu 0xfffe
	v_add_co_ci_u32_e32 v3, vcc_lo, 0, v3, vcc_lo
	v_cmp_ne_u32_e32 vcc_lo, 0, v10
	v_fma_f16 v1, v40, v22, -v1
	v_and_b32_e32 v14, 0xffff, v14
	s_sub_co_i32 s3, s0, s4
	v_lshrrev_b32_e32 v11, 16, v11
	s_wait_alu 0xfffd
	v_cndmask_b32_e64 v10, 0, 1, vcc_lo
	v_cmp_ne_u32_e32 vcc_lo, 0, v18
	v_cvt_f32_f16_e32 v1, v1
	s_delay_alu instid0(VALU_DEP_3)
	v_and_or_b32 v17, 0xffe, v17, v10
	v_sub_nc_u32_e32 v10, 0x3f1, v20
	s_wait_alu 0xfffd
	v_cndmask_b32_e64 v2, 0, 1, vcc_lo
	v_cmp_gt_i32_e32 vcc_lo, 31, v19
	v_or_b32_e32 v18, 0x1000, v17
	v_med3_i32 v22, v10, 0, 13
	s_delay_alu instid0(VALU_DEP_4)
	v_lshl_or_b32 v2, v2, 9, 0x7c00
	s_wait_alu 0xfffd
	v_cndmask_b32_e32 v3, 0x7c00, v3, vcc_lo
	v_cmp_eq_u32_e32 vcc_lo, 0x40f, v19
	v_lshrrev_b32_e32 v19, 16, v9
	v_lshrrev_b32_e32 v23, v22, v18
	v_and_or_b32 v7, 0x1ff, v8, v7
	s_wait_alu 0xfffd
	v_cndmask_b32_e32 v3, v3, v2, vcc_lo
	v_add_co_u32 v9, vcc_lo, v5, s6
	s_wait_alu 0xfffd
	v_add_co_ci_u32_e32 v10, vcc_lo, s7, v6, vcc_lo
	v_cvt_f64_f32_e32 v[1:2], v1
	v_lshlrev_b32_e32 v16, v22, v23
	v_cmp_ne_u32_e32 vcc_lo, 0, v7
	v_and_or_b32 v3, 0x8000, v19, v3
	v_lshrrev_b32_e32 v19, 8, v8
	v_bfe_u32 v22, v8, 20, 11
	v_mul_f64_e32 v[12:13], s[8:9], v[12:13]
	s_wait_alu 0xfffd
	v_cndmask_b32_e64 v7, 0, 1, vcc_lo
	v_cmp_ne_u32_e32 vcc_lo, v16, v18
	v_add_nc_u32_e32 v18, 0xfffffc10, v20
	v_lshl_or_b32 v3, v3, 16, v14
	s_clause 0x1
	global_store_b32 v[5:6], v21, off
	global_store_b32 v[9:10], v15, off
	v_and_or_b32 v7, 0xffe, v19, v7
	s_wait_alu 0xfffd
	v_cndmask_b32_e64 v16, 0, 1, vcc_lo
	v_sub_nc_u32_e32 v19, 0x3f1, v22
	v_lshl_or_b32 v20, v18, 12, v17
	v_cmp_gt_i32_e32 vcc_lo, 1, v18
	v_mad_co_u64_u32 v[5:6], null, 0xfffff31c, s4, v[9:10]
	v_or_b32_e32 v16, v23, v16
	v_or_b32_e32 v23, 0x1000, v7
	v_med3_i32 v19, v19, 0, 13
	v_lshrrev_b32_e32 v8, 16, v8
	s_wait_alu 0xfffd
	v_cndmask_b32_e32 v16, v20, v16, vcc_lo
	s_wait_alu 0xfffe
	v_add_nc_u32_e32 v6, s3, v6
	v_lshrrev_b32_e32 v14, v19, v23
	s_delay_alu instid0(VALU_DEP_3) | instskip(SKIP_1) | instid1(VALU_DEP_3)
	v_and_b32_e32 v15, 7, v16
	v_lshrrev_b32_e32 v10, 2, v16
	v_lshlrev_b32_e32 v9, v19, v14
	v_lshrrev_b32_e32 v16, 16, v0
	global_store_b32 v[5:6], v3, off
	v_cmp_lt_i32_e32 vcc_lo, 5, v15
	v_cmp_eq_u32_e64 s0, 3, v15
	v_cmp_ne_u32_e64 s1, v9, v23
	v_add_nc_u32_e32 v15, 0xfffffc10, v22
	v_mul_f64_e32 v[1:2], s[8:9], v[1:2]
	v_mul_f16_e32 v19, v39, v16
	s_or_b32 vcc_lo, s0, vcc_lo
	v_cndmask_b32_e64 v9, 0, 1, s1
	s_wait_alu 0xfffe
	v_add_co_ci_u32_e32 v10, vcc_lo, 0, v10, vcc_lo
	v_cmp_ne_u32_e32 vcc_lo, 0, v17
	v_fmac_f16_e32 v19, v38, v0
	v_or_b32_e32 v9, v14, v9
	v_lshl_or_b32 v14, v15, 12, v7
	v_and_or_b32 v12, 0x1ff, v13, v12
	s_wait_alu 0xfffd
	v_cndmask_b32_e64 v17, 0, 1, vcc_lo
	v_cmp_gt_i32_e32 vcc_lo, 1, v15
	v_cvt_f32_f16_e32 v19, v19
	v_bfe_u32 v20, v13, 20, 11
	v_cmp_ne_u32_e64 s0, 0, v12
	v_mul_f16_e32 v0, v39, v0
	s_wait_alu 0xfffd
	v_cndmask_b32_e32 v14, v14, v9, vcc_lo
	v_cmp_gt_i32_e32 vcc_lo, 31, v18
	s_wait_alu 0xf1ff
	v_cndmask_b32_e64 v12, 0, 1, s0
	v_fma_f16 v0, v38, v16, -v0
	s_wait_alu 0xfffd
	v_cndmask_b32_e32 v9, 0x7c00, v10, vcc_lo
	v_lshl_or_b32 v10, v17, 9, 0x7c00
	v_cmp_eq_u32_e32 vcc_lo, 0x40f, v18
	v_and_b32_e32 v17, 7, v14
	v_lshrrev_b32_e32 v14, 2, v14
	v_cvt_f32_f16_e32 v23, v0
	s_wait_alu 0xfffd
	v_cndmask_b32_e32 v18, v9, v10, vcc_lo
	v_cvt_f64_f32_e32 v[9:10], v19
	v_cmp_lt_i32_e32 vcc_lo, 5, v17
	v_cmp_eq_u32_e64 s0, 3, v17
	v_lshrrev_b32_e32 v19, 8, v13
	v_sub_nc_u32_e32 v17, 0x3f1, v20
	v_and_or_b32 v11, 0x8000, v11, v18
	v_lshrrev_b32_e32 v13, 16, v13
	s_or_b32 vcc_lo, s0, vcc_lo
	v_and_or_b32 v12, 0xffe, v19, v12
	s_wait_alu 0xfffe
	v_add_co_ci_u32_e32 v14, vcc_lo, 0, v14, vcc_lo
	v_cmp_gt_i32_e32 vcc_lo, 31, v15
	v_and_or_b32 v1, 0x1ff, v2, v1
	v_or_b32_e32 v18, 0x1000, v12
	v_med3_i32 v17, v17, 0, 13
	v_lshrrev_b32_e32 v21, 8, v2
	s_wait_alu 0xfffd
	v_cndmask_b32_e32 v14, 0x7c00, v14, vcc_lo
	v_cmp_ne_u32_e32 vcc_lo, 0, v7
	v_bfe_u32 v22, v2, 20, 11
	v_lshrrev_b32_e32 v19, v17, v18
	s_wait_alu 0xfffd
	v_cndmask_b32_e64 v7, 0, 1, vcc_lo
	v_cmp_ne_u32_e32 vcc_lo, 0, v1
	s_delay_alu instid0(VALU_DEP_3) | instskip(NEXT) | instid1(VALU_DEP_3)
	v_lshlrev_b32_e32 v17, v17, v19
	v_lshl_or_b32 v7, v7, 9, 0x7c00
	s_wait_alu 0xfffd
	v_cndmask_b32_e64 v1, 0, 1, vcc_lo
	s_delay_alu instid0(VALU_DEP_3) | instskip(SKIP_1) | instid1(VALU_DEP_3)
	v_cmp_ne_u32_e32 vcc_lo, v17, v18
	v_add_nc_u32_e32 v17, 0xfffffc10, v20
	v_and_or_b32 v21, 0xffe, v21, v1
	v_sub_nc_u32_e32 v1, 0x3f1, v22
	s_wait_alu 0xfffd
	v_cndmask_b32_e64 v16, 0, 1, vcc_lo
	v_cmp_eq_u32_e32 vcc_lo, 0x40f, v15
	v_or_b32_e32 v18, 0x1000, v21
	v_med3_i32 v20, v1, 0, 13
	v_mul_f64_e32 v[0:1], s[8:9], v[9:10]
	v_cvt_f64_f32_e32 v[9:10], v23
	v_or_b32_e32 v16, v19, v16
	v_lshl_or_b32 v19, v17, 12, v12
	v_lshrrev_b32_e32 v24, v20, v18
	s_wait_alu 0xfffd
	v_cndmask_b32_e32 v7, v14, v7, vcc_lo
	v_cmp_gt_i32_e32 vcc_lo, 1, v17
	s_delay_alu instid0(VALU_DEP_3) | instskip(NEXT) | instid1(VALU_DEP_3)
	v_lshlrev_b32_e32 v15, v20, v24
	v_and_or_b32 v7, 0x8000, v8, v7
	s_wait_alu 0xfffd
	v_cndmask_b32_e32 v14, v19, v16, vcc_lo
	v_and_b32_e32 v8, 0xffff, v11
	v_add_nc_u32_e32 v16, 0xfffffc10, v22
	v_cmp_ne_u32_e32 vcc_lo, v15, v18
	s_delay_alu instid0(VALU_DEP_4) | instskip(NEXT) | instid1(VALU_DEP_4)
	v_and_b32_e32 v11, 7, v14
	v_lshl_or_b32 v18, v7, 16, v8
	s_delay_alu instid0(VALU_DEP_4)
	v_lshl_or_b32 v7, v16, 12, v21
	s_wait_alu 0xfffd
	v_cndmask_b32_e64 v15, 0, 1, vcc_lo
	v_cmp_gt_i32_e64 s1, 1, v16
	v_cmp_lt_i32_e32 vcc_lo, 5, v11
	v_cmp_eq_u32_e64 s0, 3, v11
	v_lshrrev_b32_e32 v8, 2, v14
	v_or_b32_e32 v3, v24, v15
	v_lshrrev_b32_e32 v15, 16, v4
	s_delay_alu instid0(VALU_DEP_4) | instskip(NEXT) | instid1(VALU_DEP_2)
	s_or_b32 vcc_lo, s0, vcc_lo
	v_cndmask_b32_e64 v3, v7, v3, s1
	s_delay_alu instid0(VALU_DEP_2)
	v_mul_f16_e32 v7, v37, v15
	s_wait_alu 0xfffe
	v_add_co_ci_u32_e32 v8, vcc_lo, 0, v8, vcc_lo
	v_cmp_ne_u32_e32 vcc_lo, 0, v12
	v_and_b32_e32 v12, 7, v3
	v_fmac_f16_e32 v7, v36, v4
	v_lshrrev_b32_e32 v3, 2, v3
	v_and_or_b32 v0, 0x1ff, v1, v0
	s_wait_alu 0xfffd
	v_cndmask_b32_e64 v11, 0, 1, vcc_lo
	v_cmp_gt_i32_e32 vcc_lo, 31, v17
	v_cvt_f32_f16_e32 v19, v7
	v_cmp_eq_u32_e64 s0, 3, v12
	v_cmp_ne_u32_e64 s1, 0, v0
	v_lshl_or_b32 v11, v11, 9, 0x7c00
	s_wait_alu 0xfffd
	v_cndmask_b32_e32 v14, 0x7c00, v8, vcc_lo
	v_mul_f64_e32 v[7:8], s[8:9], v[9:10]
	v_cvt_f64_f32_e32 v[9:10], v19
	v_cmp_lt_i32_e32 vcc_lo, 5, v12
	s_wait_alu 0xf1ff
	v_cndmask_b32_e64 v0, 0, 1, s1
	v_lshrrev_b32_e32 v12, 8, v1
	v_bfe_u32 v19, v1, 20, 11
	v_cmp_eq_u32_e64 s1, 0x40f, v17
	s_or_b32 vcc_lo, s0, vcc_lo
	s_delay_alu instid0(VALU_DEP_3) | instskip(NEXT) | instid1(VALU_DEP_3)
	v_and_or_b32 v0, 0xffe, v12, v0
	v_sub_nc_u32_e32 v12, 0x3f1, v19
	s_wait_alu 0xfffe
	v_add_co_ci_u32_e32 v3, vcc_lo, 0, v3, vcc_lo
	v_cmp_ne_u32_e32 vcc_lo, 0, v21
	v_or_b32_e32 v17, 0x1000, v0
	v_med3_i32 v12, v12, 0, 13
	v_cndmask_b32_e64 v11, v14, v11, s1
	s_wait_alu 0xfffd
	v_cndmask_b32_e64 v14, 0, 1, vcc_lo
	v_cmp_gt_i32_e32 vcc_lo, 31, v16
	v_lshrrev_b32_e32 v20, v12, v17
	v_and_or_b32 v11, 0x8000, v13, v11
	s_delay_alu instid0(VALU_DEP_4) | instskip(SKIP_1) | instid1(VALU_DEP_3)
	v_lshl_or_b32 v14, v14, 9, 0x7c00
	s_wait_alu 0xfffd
	v_dual_cndmask_b32 v3, 0x7c00, v3 :: v_dual_lshlrev_b32 v12, v12, v20
	v_add_co_u32 v5, vcc_lo, v5, s6
	s_wait_alu 0xfffd
	v_add_co_ci_u32_e32 v6, vcc_lo, s7, v6, vcc_lo
	v_cmp_eq_u32_e32 vcc_lo, 0x40f, v16
	v_and_b32_e32 v11, 0xffff, v11
	s_wait_alu 0xfffd
	v_cndmask_b32_e32 v13, v3, v14, vcc_lo
	v_cmp_ne_u32_e32 vcc_lo, v12, v17
	v_mul_f16_e32 v3, v37, v4
	v_lshrrev_b32_e32 v4, 16, v2
	v_and_or_b32 v7, 0x1ff, v8, v7
	v_add_nc_u32_e32 v17, 0xfffffc10, v19
	s_wait_alu 0xfffd
	v_cndmask_b32_e64 v2, 0, 1, vcc_lo
	v_fma_f16 v12, v36, v15, -v3
	ds_load_b32 v14, v33 offset:5280
	v_cmp_ne_u32_e32 vcc_lo, 0, v7
	v_lshl_or_b32 v16, v17, 12, v0
	v_or_b32_e32 v15, v20, v2
	v_mul_f64_e32 v[2:3], s[8:9], v[9:10]
	v_cvt_f32_f16_e32 v9, v12
	s_wait_alu 0xfffd
	v_cndmask_b32_e64 v7, 0, 1, vcc_lo
	v_cmp_gt_i32_e32 vcc_lo, 1, v17
	v_lshrrev_b32_e32 v12, 8, v8
	v_bfe_u32 v19, v8, 20, 11
	v_cvt_f64_f32_e32 v[9:10], v9
	v_and_or_b32 v4, 0x8000, v4, v13
	s_wait_alu 0xfffd
	v_cndmask_b32_e32 v15, v16, v15, vcc_lo
	v_and_or_b32 v7, 0xffe, v12, v7
	v_sub_nc_u32_e32 v12, 0x3f1, v19
	v_add_nc_u32_e32 v19, 0xfffffc10, v19
	v_lshl_or_b32 v4, v4, 16, v11
	v_and_b32_e32 v13, 7, v15
	v_or_b32_e32 v16, 0x1000, v7
	v_med3_i32 v20, v12, 0, 13
	v_lshrrev_b32_e32 v15, 2, v15
	s_wait_dscnt 0x0
	v_lshrrev_b32_e32 v21, 16, v14
	v_cmp_lt_i32_e32 vcc_lo, 5, v13
	v_cmp_eq_u32_e64 s0, 3, v13
	v_lshrrev_b32_e32 v22, v20, v16
	v_add_co_u32 v11, s1, v5, s6
	v_mul_f16_e32 v13, v35, v21
	s_delay_alu instid0(VALU_DEP_4)
	s_or_b32 vcc_lo, s0, vcc_lo
	v_add_co_ci_u32_e64 v12, s1, s7, v6, s1
	s_wait_alu 0xfffe
	v_add_co_ci_u32_e32 v23, vcc_lo, 0, v15, vcc_lo
	v_lshlrev_b32_e32 v20, v20, v22
	v_fmac_f16_e32 v13, v34, v14
	v_mul_f16_e32 v14, v35, v14
	v_cmp_eq_u32_e64 s1, 0x40f, v17
	v_lshrrev_b32_e32 v8, 16, v8
	v_cmp_ne_u32_e32 vcc_lo, v20, v16
	v_cvt_f32_f16_e32 v13, v13
	v_fma_f16 v16, v34, v21, -v14
	v_lshl_or_b32 v21, v19, 12, v7
	v_and_or_b32 v2, 0x1ff, v3, v2
	s_wait_alu 0xfffd
	v_cndmask_b32_e64 v15, 0, 1, vcc_lo
	v_cvt_f64_f32_e32 v[13:14], v13
	v_bfe_u32 v24, v3, 20, 11
	v_cmp_ne_u32_e32 vcc_lo, 0, v2
	s_delay_alu instid0(VALU_DEP_4)
	v_or_b32_e32 v20, v22, v15
	v_cvt_f32_f16_e32 v15, v16
	v_lshrrev_b32_e32 v22, 8, v3
	v_mul_f64_e32 v[9:10], s[8:9], v[9:10]
	s_wait_alu 0xfffd
	v_cndmask_b32_e64 v2, 0, 1, vcc_lo
	v_cmp_gt_i32_e32 vcc_lo, 1, v19
	v_cvt_f64_f32_e32 v[15:16], v15
	v_lshrrev_b32_e32 v3, 16, v3
	s_delay_alu instid0(VALU_DEP_4)
	v_and_or_b32 v2, 0xffe, v22, v2
	s_wait_alu 0xfffd
	v_cndmask_b32_e32 v20, v21, v20, vcc_lo
	v_cmp_ne_u32_e32 vcc_lo, 0, v0
	v_sub_nc_u32_e32 v21, 0x3f1, v24
	v_add_nc_u32_e32 v24, 0xfffffc10, v24
	v_or_b32_e32 v25, 0x1000, v2
	v_and_b32_e32 v22, 7, v20
	s_wait_alu 0xfffd
	v_cndmask_b32_e64 v0, 0, 1, vcc_lo
	v_cmp_gt_i32_e32 vcc_lo, 31, v17
	v_med3_i32 v21, v21, 0, 13
	v_cmp_eq_u32_e64 s0, 3, v22
	s_delay_alu instid0(VALU_DEP_4)
	v_lshl_or_b32 v0, v0, 9, 0x7c00
	s_wait_alu 0xfffd
	v_cndmask_b32_e32 v23, 0x7c00, v23, vcc_lo
	v_cmp_lt_i32_e32 vcc_lo, 5, v22
	v_lshrrev_b32_e32 v22, v21, v25
	s_wait_alu 0xf1ff
	s_delay_alu instid0(VALU_DEP_3)
	v_cndmask_b32_e64 v17, v23, v0, s1
	v_lshrrev_b32_e32 v0, 2, v20
	s_or_b32 vcc_lo, s0, vcc_lo
	v_lshrrev_b32_e32 v20, 16, v1
	v_lshlrev_b32_e32 v1, v21, v22
	s_wait_alu 0xfffe
	v_add_co_ci_u32_e32 v21, vcc_lo, 0, v0, vcc_lo
	v_cmp_ne_u32_e32 vcc_lo, 0, v7
	v_and_or_b32 v17, 0x8000, v20, v17
	s_wait_alu 0xfffd
	v_cndmask_b32_e64 v7, 0, 1, vcc_lo
	v_cmp_ne_u32_e32 vcc_lo, v1, v25
	v_mul_f64_e32 v[0:1], s[8:9], v[13:14]
	v_and_or_b32 v9, 0x1ff, v10, v9
	v_and_b32_e32 v17, 0xffff, v17
	v_lshl_or_b32 v7, v7, 9, 0x7c00
	s_wait_alu 0xfffd
	v_cndmask_b32_e64 v23, 0, 1, vcc_lo
	v_cmp_gt_i32_e32 vcc_lo, 31, v19
	s_wait_alu 0xfffd
	v_cndmask_b32_e32 v13, 0x7c00, v21, vcc_lo
	v_cmp_eq_u32_e32 vcc_lo, 0x40f, v19
	v_or_b32_e32 v21, v22, v23
	v_lshl_or_b32 v22, v24, 12, v2
	v_bfe_u32 v19, v10, 20, 11
	s_wait_alu 0xfffd
	v_cndmask_b32_e32 v7, v13, v7, vcc_lo
	v_cmp_gt_i32_e32 vcc_lo, 1, v24
	v_mul_f64_e32 v[13:14], s[8:9], v[15:16]
	v_lshrrev_b32_e32 v16, 8, v10
	v_lshrrev_b32_e32 v10, 16, v10
	s_wait_alu 0xfffd
	v_cndmask_b32_e32 v15, v22, v21, vcc_lo
	v_cmp_ne_u32_e32 vcc_lo, 0, v9
	v_and_or_b32 v21, 0x8000, v8, v7
	v_mad_co_u64_u32 v[7:8], null, 0xfffff31c, s4, v[11:12]
	s_delay_alu instid0(VALU_DEP_4) | instskip(SKIP_3) | instid1(VALU_DEP_3)
	v_and_b32_e32 v20, 7, v15
	s_wait_alu 0xfffd
	v_cndmask_b32_e64 v9, 0, 1, vcc_lo
	v_lshrrev_b32_e32 v15, 2, v15
	v_cmp_lt_i32_e32 vcc_lo, 5, v20
	s_delay_alu instid0(VALU_DEP_3)
	v_and_or_b32 v9, 0xffe, v16, v9
	v_sub_nc_u32_e32 v16, 0x3f1, v19
	v_cmp_eq_u32_e64 s0, 3, v20
	v_add_nc_u32_e32 v19, 0xfffffc10, v19
	v_add_nc_u32_e32 v8, s3, v8
	v_or_b32_e32 v22, 0x1000, v9
	v_med3_i32 v16, v16, 0, 13
	s_or_b32 vcc_lo, s0, vcc_lo
	v_and_or_b32 v0, 0x1ff, v1, v0
	s_wait_alu 0xfffe
	v_add_co_ci_u32_e32 v15, vcc_lo, 0, v15, vcc_lo
	v_lshrrev_b32_e32 v20, v16, v22
	v_cmp_ne_u32_e32 vcc_lo, 0, v2
	v_bfe_u32 v23, v1, 20, 11
	s_delay_alu instid0(VALU_DEP_3) | instskip(SKIP_3) | instid1(VALU_DEP_2)
	v_lshlrev_b32_e32 v16, v16, v20
	s_wait_alu 0xfffd
	v_cndmask_b32_e64 v2, 0, 1, vcc_lo
	v_cmp_gt_i32_e32 vcc_lo, 31, v24
	v_lshl_or_b32 v2, v2, 9, 0x7c00
	s_wait_alu 0xfffd
	v_cndmask_b32_e32 v15, 0x7c00, v15, vcc_lo
	v_cmp_ne_u32_e32 vcc_lo, v16, v22
	v_and_or_b32 v13, 0x1ff, v14, v13
	v_lshrrev_b32_e32 v22, 8, v1
	v_lshrrev_b32_e32 v25, 8, v14
	v_bfe_u32 v26, v14, 20, 11
	s_wait_alu 0xfffd
	v_cndmask_b32_e64 v16, 0, 1, vcc_lo
	v_cmp_ne_u32_e32 vcc_lo, 0, v0
	v_lshrrev_b32_e32 v1, 16, v1
	s_delay_alu instid0(VALU_DEP_3) | instskip(SKIP_4) | instid1(VALU_DEP_3)
	v_or_b32_e32 v16, v20, v16
	s_wait_alu 0xfffd
	v_cndmask_b32_e64 v0, 0, 1, vcc_lo
	v_cmp_ne_u32_e32 vcc_lo, 0, v13
	v_lshl_or_b32 v20, v19, 12, v9
	v_and_or_b32 v0, 0xffe, v22, v0
	v_sub_nc_u32_e32 v22, 0x3f1, v23
	s_wait_alu 0xfffd
	v_cndmask_b32_e64 v13, 0, 1, vcc_lo
	v_cmp_gt_i32_e32 vcc_lo, 1, v19
	s_delay_alu instid0(VALU_DEP_3) | instskip(NEXT) | instid1(VALU_DEP_3)
	v_med3_i32 v22, v22, 0, 13
	v_and_or_b32 v13, 0xffe, v25, v13
	s_wait_alu 0xfffd
	v_cndmask_b32_e32 v16, v20, v16, vcc_lo
	v_or_b32_e32 v20, 0x1000, v0
	v_sub_nc_u32_e32 v25, 0x3f1, v26
	v_cmp_eq_u32_e32 vcc_lo, 0x40f, v24
	v_or_b32_e32 v27, 0x1000, v13
	v_and_b32_e32 v24, 7, v16
	v_lshrrev_b32_e32 v16, 2, v16
	v_med3_i32 v25, v25, 0, 13
	s_wait_alu 0xfffd
	v_cndmask_b32_e32 v2, v15, v2, vcc_lo
	v_lshrrev_b32_e32 v15, v22, v20
	v_cmp_lt_i32_e32 vcc_lo, 5, v24
	v_cmp_eq_u32_e64 s0, 3, v24
	v_lshrrev_b32_e32 v24, v25, v27
	v_and_or_b32 v2, 0x8000, v3, v2
	v_lshlrev_b32_e32 v22, v22, v15
	s_delay_alu instid0(VALU_DEP_4) | instskip(SKIP_2) | instid1(VALU_DEP_2)
	s_or_b32 vcc_lo, s0, vcc_lo
	s_wait_alu 0xfffe
	v_add_co_ci_u32_e32 v16, vcc_lo, 0, v16, vcc_lo
	v_cmp_ne_u32_e64 s1, v22, v20
	v_add_nc_u32_e32 v22, 0xfffffc10, v23
	v_lshlrev_b32_e32 v23, v25, v24
	v_add_nc_u32_e32 v25, 0xfffffc10, v26
	v_and_b32_e32 v2, 0xffff, v2
	s_wait_alu 0xf1ff
	v_cndmask_b32_e64 v20, 0, 1, s1
	v_cmp_ne_u32_e32 vcc_lo, v23, v27
	s_delay_alu instid0(VALU_DEP_2)
	v_or_b32_e32 v15, v15, v20
	v_lshl_or_b32 v20, v22, 12, v0
	s_wait_alu 0xfffd
	v_cndmask_b32_e64 v23, 0, 1, vcc_lo
	v_cmp_ne_u32_e32 vcc_lo, 0, v9
	s_wait_alu 0xfffd
	v_cndmask_b32_e64 v9, 0, 1, vcc_lo
	v_cmp_gt_i32_e32 vcc_lo, 1, v22
	s_delay_alu instid0(VALU_DEP_2)
	v_lshl_or_b32 v9, v9, 9, 0x7c00
	s_wait_alu 0xfffd
	v_cndmask_b32_e32 v15, v20, v15, vcc_lo
	v_cmp_gt_i32_e32 vcc_lo, 31, v19
	v_or_b32_e32 v20, v24, v23
	v_lshl_or_b32 v23, v25, 12, v13
	s_delay_alu instid0(VALU_DEP_4) | instskip(SKIP_3) | instid1(VALU_DEP_3)
	v_and_b32_e32 v24, 7, v15
	s_wait_alu 0xfffd
	v_cndmask_b32_e32 v16, 0x7c00, v16, vcc_lo
	v_cmp_gt_i32_e32 vcc_lo, 1, v25
	v_cmp_eq_u32_e64 s0, 3, v24
	s_wait_alu 0xfffd
	v_cndmask_b32_e32 v20, v23, v20, vcc_lo
	v_cmp_eq_u32_e32 vcc_lo, 0x40f, v19
	s_delay_alu instid0(VALU_DEP_2) | instskip(SKIP_3) | instid1(VALU_DEP_3)
	v_and_b32_e32 v3, 7, v20
	s_wait_alu 0xfffd
	v_cndmask_b32_e32 v9, v16, v9, vcc_lo
	v_cmp_lt_i32_e32 vcc_lo, 5, v24
	v_cmp_lt_i32_e64 s1, 5, v3
	s_delay_alu instid0(VALU_DEP_3) | instskip(SKIP_3) | instid1(VALU_DEP_3)
	v_and_or_b32 v9, 0x8000, v10, v9
	v_lshrrev_b32_e32 v10, 2, v15
	s_or_b32 vcc_lo, s0, vcc_lo
	v_cmp_eq_u32_e64 s2, 3, v3
	v_lshl_or_b32 v9, v9, 16, v2
	s_wait_alu 0xfffe
	v_add_co_ci_u32_e32 v3, vcc_lo, 0, v10, vcc_lo
	v_cmp_ne_u32_e32 vcc_lo, 0, v0
	v_lshrrev_b32_e32 v10, 2, v20
	s_wait_alu 0xfffd
	v_cndmask_b32_e64 v0, 0, 1, vcc_lo
	s_or_b32 vcc_lo, s2, s1
	s_wait_alu 0xfffe
	v_add_co_ci_u32_e32 v10, vcc_lo, 0, v10, vcc_lo
	v_cmp_ne_u32_e32 vcc_lo, 0, v13
	v_lshl_or_b32 v0, v0, 9, 0x7c00
	s_wait_alu 0xfffd
	v_cndmask_b32_e64 v13, 0, 1, vcc_lo
	v_cmp_gt_i32_e32 vcc_lo, 31, v22
	s_delay_alu instid0(VALU_DEP_2)
	v_lshl_or_b32 v13, v13, 9, 0x7c00
	s_wait_alu 0xfffd
	v_cndmask_b32_e32 v3, 0x7c00, v3, vcc_lo
	v_cmp_gt_i32_e32 vcc_lo, 31, v25
	s_wait_alu 0xfffd
	v_cndmask_b32_e32 v10, 0x7c00, v10, vcc_lo
	v_cmp_eq_u32_e32 vcc_lo, 0x40f, v22
	s_wait_alu 0xfffd
	v_cndmask_b32_e32 v0, v3, v0, vcc_lo
	v_cmp_eq_u32_e32 vcc_lo, 0x40f, v25
	s_delay_alu instid0(VALU_DEP_2) | instskip(SKIP_4) | instid1(VALU_DEP_2)
	v_and_or_b32 v0, 0x8000, v1, v0
	s_wait_alu 0xfffd
	v_cndmask_b32_e32 v3, v10, v13, vcc_lo
	v_lshrrev_b32_e32 v10, 16, v14
	v_lshl_or_b32 v13, v21, 16, v17
	v_and_or_b32 v2, 0x8000, v10, v3
	v_and_b32_e32 v3, 0xffff, v0
	v_add_co_u32 v0, vcc_lo, v7, s6
	s_wait_alu 0xfffd
	v_add_co_ci_u32_e32 v1, vcc_lo, s7, v8, vcc_lo
	s_delay_alu instid0(VALU_DEP_3) | instskip(NEXT) | instid1(VALU_DEP_3)
	v_lshl_or_b32 v10, v2, 16, v3
	v_add_co_u32 v2, vcc_lo, v0, s6
	s_wait_alu 0xfffd
	s_delay_alu instid0(VALU_DEP_3)
	v_add_co_ci_u32_e32 v3, vcc_lo, s7, v1, vcc_lo
	global_store_b32 v[5:6], v18, off
	global_store_b32 v[11:12], v4, off
	;; [unrolled: 1-line block ×5, first 2 shown]
.LBB0_18:
	s_nop 0
	s_sendmsg sendmsg(MSG_DEALLOC_VGPRS)
	s_endpgm
	.section	.rodata,"a",@progbits
	.p2align	6, 0x0
	.amdhsa_kernel bluestein_single_back_len1485_dim1_half_op_CI_CI
		.amdhsa_group_segment_fixed_size 5940
		.amdhsa_private_segment_fixed_size 0
		.amdhsa_kernarg_size 104
		.amdhsa_user_sgpr_count 2
		.amdhsa_user_sgpr_dispatch_ptr 0
		.amdhsa_user_sgpr_queue_ptr 0
		.amdhsa_user_sgpr_kernarg_segment_ptr 1
		.amdhsa_user_sgpr_dispatch_id 0
		.amdhsa_user_sgpr_private_segment_size 0
		.amdhsa_wavefront_size32 1
		.amdhsa_uses_dynamic_stack 0
		.amdhsa_enable_private_segment 0
		.amdhsa_system_sgpr_workgroup_id_x 1
		.amdhsa_system_sgpr_workgroup_id_y 0
		.amdhsa_system_sgpr_workgroup_id_z 0
		.amdhsa_system_sgpr_workgroup_info 0
		.amdhsa_system_vgpr_workitem_id 0
		.amdhsa_next_free_vgpr 183
		.amdhsa_next_free_sgpr 20
		.amdhsa_reserve_vcc 1
		.amdhsa_float_round_mode_32 0
		.amdhsa_float_round_mode_16_64 0
		.amdhsa_float_denorm_mode_32 3
		.amdhsa_float_denorm_mode_16_64 3
		.amdhsa_fp16_overflow 0
		.amdhsa_workgroup_processor_mode 1
		.amdhsa_memory_ordered 1
		.amdhsa_forward_progress 0
		.amdhsa_round_robin_scheduling 0
		.amdhsa_exception_fp_ieee_invalid_op 0
		.amdhsa_exception_fp_denorm_src 0
		.amdhsa_exception_fp_ieee_div_zero 0
		.amdhsa_exception_fp_ieee_overflow 0
		.amdhsa_exception_fp_ieee_underflow 0
		.amdhsa_exception_fp_ieee_inexact 0
		.amdhsa_exception_int_div_zero 0
	.end_amdhsa_kernel
	.text
.Lfunc_end0:
	.size	bluestein_single_back_len1485_dim1_half_op_CI_CI, .Lfunc_end0-bluestein_single_back_len1485_dim1_half_op_CI_CI
                                        ; -- End function
	.section	.AMDGPU.csdata,"",@progbits
; Kernel info:
; codeLenInByte = 19940
; NumSgprs: 22
; NumVgprs: 183
; ScratchSize: 0
; MemoryBound: 0
; FloatMode: 240
; IeeeMode: 1
; LDSByteSize: 5940 bytes/workgroup (compile time only)
; SGPRBlocks: 2
; VGPRBlocks: 22
; NumSGPRsForWavesPerEU: 22
; NumVGPRsForWavesPerEU: 183
; Occupancy: 8
; WaveLimiterHint : 1
; COMPUTE_PGM_RSRC2:SCRATCH_EN: 0
; COMPUTE_PGM_RSRC2:USER_SGPR: 2
; COMPUTE_PGM_RSRC2:TRAP_HANDLER: 0
; COMPUTE_PGM_RSRC2:TGID_X_EN: 1
; COMPUTE_PGM_RSRC2:TGID_Y_EN: 0
; COMPUTE_PGM_RSRC2:TGID_Z_EN: 0
; COMPUTE_PGM_RSRC2:TIDIG_COMP_CNT: 0
	.text
	.p2alignl 7, 3214868480
	.fill 96, 4, 3214868480
	.type	__hip_cuid_d1d6566271448399,@object ; @__hip_cuid_d1d6566271448399
	.section	.bss,"aw",@nobits
	.globl	__hip_cuid_d1d6566271448399
__hip_cuid_d1d6566271448399:
	.byte	0                               ; 0x0
	.size	__hip_cuid_d1d6566271448399, 1

	.ident	"AMD clang version 19.0.0git (https://github.com/RadeonOpenCompute/llvm-project roc-6.4.0 25133 c7fe45cf4b819c5991fe208aaa96edf142730f1d)"
	.section	".note.GNU-stack","",@progbits
	.addrsig
	.addrsig_sym __hip_cuid_d1d6566271448399
	.amdgpu_metadata
---
amdhsa.kernels:
  - .args:
      - .actual_access:  read_only
        .address_space:  global
        .offset:         0
        .size:           8
        .value_kind:     global_buffer
      - .actual_access:  read_only
        .address_space:  global
        .offset:         8
        .size:           8
        .value_kind:     global_buffer
      - .actual_access:  read_only
        .address_space:  global
        .offset:         16
        .size:           8
        .value_kind:     global_buffer
      - .actual_access:  read_only
        .address_space:  global
        .offset:         24
        .size:           8
        .value_kind:     global_buffer
      - .actual_access:  read_only
        .address_space:  global
        .offset:         32
        .size:           8
        .value_kind:     global_buffer
      - .offset:         40
        .size:           8
        .value_kind:     by_value
      - .address_space:  global
        .offset:         48
        .size:           8
        .value_kind:     global_buffer
      - .address_space:  global
        .offset:         56
        .size:           8
        .value_kind:     global_buffer
      - .address_space:  global
        .offset:         64
        .size:           8
        .value_kind:     global_buffer
      - .address_space:  global
        .offset:         72
        .size:           8
        .value_kind:     global_buffer
      - .offset:         80
        .size:           4
        .value_kind:     by_value
      - .address_space:  global
        .offset:         88
        .size:           8
        .value_kind:     global_buffer
      - .address_space:  global
        .offset:         96
        .size:           8
        .value_kind:     global_buffer
    .group_segment_fixed_size: 5940
    .kernarg_segment_align: 8
    .kernarg_segment_size: 104
    .language:       OpenCL C
    .language_version:
      - 2
      - 0
    .max_flat_workgroup_size: 165
    .name:           bluestein_single_back_len1485_dim1_half_op_CI_CI
    .private_segment_fixed_size: 0
    .sgpr_count:     22
    .sgpr_spill_count: 0
    .symbol:         bluestein_single_back_len1485_dim1_half_op_CI_CI.kd
    .uniform_work_group_size: 1
    .uses_dynamic_stack: false
    .vgpr_count:     183
    .vgpr_spill_count: 0
    .wavefront_size: 32
    .workgroup_processor_mode: 1
amdhsa.target:   amdgcn-amd-amdhsa--gfx1201
amdhsa.version:
  - 1
  - 2
...

	.end_amdgpu_metadata
